;; amdgpu-corpus repo=ROCm/rocFFT kind=compiled arch=gfx950 opt=O3
	.text
	.amdgcn_target "amdgcn-amd-amdhsa--gfx950"
	.amdhsa_code_object_version 6
	.protected	fft_rtc_back_len1020_factors_2_17_2_3_5_wgs_204_tpt_68_halfLds_dp_op_CI_CI_unitstride_sbrr_C2R_dirReg ; -- Begin function fft_rtc_back_len1020_factors_2_17_2_3_5_wgs_204_tpt_68_halfLds_dp_op_CI_CI_unitstride_sbrr_C2R_dirReg
	.globl	fft_rtc_back_len1020_factors_2_17_2_3_5_wgs_204_tpt_68_halfLds_dp_op_CI_CI_unitstride_sbrr_C2R_dirReg
	.p2align	8
	.type	fft_rtc_back_len1020_factors_2_17_2_3_5_wgs_204_tpt_68_halfLds_dp_op_CI_CI_unitstride_sbrr_C2R_dirReg,@function
fft_rtc_back_len1020_factors_2_17_2_3_5_wgs_204_tpt_68_halfLds_dp_op_CI_CI_unitstride_sbrr_C2R_dirReg: ; @fft_rtc_back_len1020_factors_2_17_2_3_5_wgs_204_tpt_68_halfLds_dp_op_CI_CI_unitstride_sbrr_C2R_dirReg
; %bb.0:
	s_load_dwordx4 s[4:7], s[0:1], 0x58
	s_load_dwordx4 s[8:11], s[0:1], 0x0
	;; [unrolled: 1-line block ×3, first 2 shown]
	v_mul_u32_u24_e32 v1, 0x3c4, v0
	v_lshrrev_b32_e32 v2, 16, v1
	v_mad_u64_u32 v[4:5], s[2:3], s2, 3, v[2:3]
	v_mov_b32_e32 v6, 0
	v_mov_b32_e32 v5, v6
	s_waitcnt lgkmcnt(0)
	v_cmp_lt_u64_e64 s[2:3], s[10:11], 2
	v_mov_b64_e32 v[2:3], 0
	s_and_b64 vcc, exec, s[2:3]
	v_mov_b64_e32 v[84:85], v[2:3]
	v_mov_b64_e32 v[86:87], v[4:5]
	s_cbranch_vccnz .LBB0_8
; %bb.1:
	s_load_dwordx2 s[2:3], s[0:1], 0x10
	s_add_u32 s16, s14, 8
	s_addc_u32 s17, s15, 0
	s_add_u32 s18, s12, 8
	s_addc_u32 s19, s13, 0
	s_waitcnt lgkmcnt(0)
	s_add_u32 s20, s2, 8
	v_mov_b64_e32 v[2:3], 0
	s_addc_u32 s21, s3, 0
	s_mov_b64 s[22:23], 1
	v_mov_b64_e32 v[84:85], v[2:3]
	v_mov_b64_e32 v[8:9], v[4:5]
.LBB0_2:                                ; =>This Inner Loop Header: Depth=1
	s_load_dwordx2 s[24:25], s[20:21], 0x0
                                        ; implicit-def: $vgpr86_vgpr87
	s_waitcnt lgkmcnt(0)
	v_or_b32_e32 v7, s25, v9
	v_cmp_ne_u64_e32 vcc, 0, v[6:7]
	s_and_saveexec_b64 s[2:3], vcc
	s_xor_b64 s[26:27], exec, s[2:3]
	s_cbranch_execz .LBB0_4
; %bb.3:                                ;   in Loop: Header=BB0_2 Depth=1
	v_cvt_f32_u32_e32 v1, s24
	v_cvt_f32_u32_e32 v5, s25
	s_sub_u32 s2, 0, s24
	s_subb_u32 s3, 0, s25
	v_fmac_f32_e32 v1, 0x4f800000, v5
	v_rcp_f32_e32 v1, v1
	s_nop 0
	v_mul_f32_e32 v1, 0x5f7ffffc, v1
	v_mul_f32_e32 v5, 0x2f800000, v1
	v_trunc_f32_e32 v5, v5
	v_fmac_f32_e32 v1, 0xcf800000, v5
	v_cvt_u32_f32_e32 v5, v5
	v_cvt_u32_f32_e32 v1, v1
	v_mul_lo_u32 v7, s2, v5
	v_mul_hi_u32 v10, s2, v1
	v_mul_lo_u32 v11, s3, v1
	v_add_u32_e32 v7, v10, v7
	v_mul_lo_u32 v14, s2, v1
	v_add_u32_e32 v7, v7, v11
	v_mul_hi_u32 v10, v1, v14
	v_mul_hi_u32 v13, v1, v7
	v_mul_lo_u32 v12, v1, v7
	v_mov_b32_e32 v11, v6
	v_lshl_add_u64 v[10:11], v[10:11], 0, v[12:13]
	v_mul_hi_u32 v13, v5, v14
	v_mul_lo_u32 v14, v5, v14
	v_add_co_u32_e32 v10, vcc, v10, v14
	v_mul_hi_u32 v12, v5, v7
	s_nop 0
	v_addc_co_u32_e32 v10, vcc, v11, v13, vcc
	v_mov_b32_e32 v11, v6
	s_nop 0
	v_addc_co_u32_e32 v13, vcc, 0, v12, vcc
	v_mul_lo_u32 v12, v5, v7
	v_lshl_add_u64 v[10:11], v[10:11], 0, v[12:13]
	v_add_co_u32_e32 v1, vcc, v1, v10
	v_mul_hi_u32 v10, s2, v1
	s_nop 0
	v_addc_co_u32_e32 v5, vcc, v5, v11, vcc
	v_mul_lo_u32 v7, s2, v5
	v_add_u32_e32 v7, v10, v7
	v_mul_lo_u32 v10, s3, v1
	v_add_u32_e32 v7, v7, v10
	v_mul_lo_u32 v12, s2, v1
	v_mul_hi_u32 v15, v5, v12
	v_mul_lo_u32 v16, v5, v12
	v_mul_hi_u32 v11, v1, v7
	;; [unrolled: 2-line block ×3, first 2 shown]
	v_mov_b32_e32 v13, v6
	v_lshl_add_u64 v[10:11], v[12:13], 0, v[10:11]
	v_add_co_u32_e32 v10, vcc, v10, v16
	v_mul_hi_u32 v14, v5, v7
	s_nop 0
	v_addc_co_u32_e32 v10, vcc, v11, v15, vcc
	v_mul_lo_u32 v12, v5, v7
	s_nop 0
	v_addc_co_u32_e32 v13, vcc, 0, v14, vcc
	v_mov_b32_e32 v11, v6
	v_lshl_add_u64 v[10:11], v[10:11], 0, v[12:13]
	v_add_co_u32_e32 v1, vcc, v1, v10
	v_mul_hi_u32 v12, v8, v1
	s_nop 0
	v_addc_co_u32_e32 v5, vcc, v5, v11, vcc
	v_mad_u64_u32 v[10:11], s[2:3], v8, v5, 0
	v_mov_b32_e32 v13, v6
	v_lshl_add_u64 v[10:11], v[12:13], 0, v[10:11]
	v_mad_u64_u32 v[14:15], s[2:3], v9, v1, 0
	v_add_co_u32_e32 v1, vcc, v10, v14
	v_mad_u64_u32 v[12:13], s[2:3], v9, v5, 0
	s_nop 0
	v_addc_co_u32_e32 v10, vcc, v11, v15, vcc
	v_mov_b32_e32 v11, v6
	s_nop 0
	v_addc_co_u32_e32 v13, vcc, 0, v13, vcc
	v_lshl_add_u64 v[10:11], v[10:11], 0, v[12:13]
	v_mul_lo_u32 v1, s25, v10
	v_mul_lo_u32 v5, s24, v11
	v_mad_u64_u32 v[12:13], s[2:3], s24, v10, 0
	v_add3_u32 v1, v13, v5, v1
	v_sub_u32_e32 v5, v9, v1
	v_mov_b32_e32 v7, s25
	v_sub_co_u32_e32 v16, vcc, v8, v12
	v_lshl_add_u64 v[14:15], v[10:11], 0, 1
	s_nop 0
	v_subb_co_u32_e64 v5, s[2:3], v5, v7, vcc
	v_subrev_co_u32_e64 v7, s[2:3], s24, v16
	v_subb_co_u32_e32 v1, vcc, v9, v1, vcc
	s_nop 0
	v_subbrev_co_u32_e64 v5, s[2:3], 0, v5, s[2:3]
	v_cmp_le_u32_e64 s[2:3], s25, v5
	v_cmp_le_u32_e32 vcc, s25, v1
	s_nop 0
	v_cndmask_b32_e64 v12, 0, -1, s[2:3]
	v_cmp_le_u32_e64 s[2:3], s24, v7
	s_nop 1
	v_cndmask_b32_e64 v7, 0, -1, s[2:3]
	v_cmp_eq_u32_e64 s[2:3], s25, v5
	s_nop 1
	v_cndmask_b32_e64 v5, v12, v7, s[2:3]
	v_lshl_add_u64 v[12:13], v[10:11], 0, 2
	v_cmp_ne_u32_e64 s[2:3], 0, v5
	v_cndmask_b32_e64 v7, 0, -1, vcc
	v_cmp_le_u32_e32 vcc, s24, v16
	v_cndmask_b32_e64 v5, v15, v13, s[2:3]
	s_nop 0
	v_cndmask_b32_e64 v13, 0, -1, vcc
	v_cmp_eq_u32_e32 vcc, s25, v1
	s_nop 1
	v_cndmask_b32_e32 v1, v7, v13, vcc
	v_cmp_ne_u32_e32 vcc, 0, v1
	v_cndmask_b32_e64 v1, v14, v12, s[2:3]
	s_nop 0
	v_cndmask_b32_e32 v87, v11, v5, vcc
	v_cndmask_b32_e32 v86, v10, v1, vcc
.LBB0_4:                                ;   in Loop: Header=BB0_2 Depth=1
	s_andn2_saveexec_b64 s[2:3], s[26:27]
	s_cbranch_execz .LBB0_6
; %bb.5:                                ;   in Loop: Header=BB0_2 Depth=1
	v_cvt_f32_u32_e32 v1, s24
	s_sub_i32 s26, 0, s24
	v_mov_b32_e32 v87, v6
	v_rcp_iflag_f32_e32 v1, v1
	s_nop 0
	v_mul_f32_e32 v1, 0x4f7ffffe, v1
	v_cvt_u32_f32_e32 v1, v1
	v_mul_lo_u32 v5, s26, v1
	v_mul_hi_u32 v5, v1, v5
	v_add_u32_e32 v1, v1, v5
	v_mul_hi_u32 v1, v8, v1
	v_mul_lo_u32 v5, v1, s24
	v_sub_u32_e32 v5, v8, v5
	v_add_u32_e32 v7, 1, v1
	v_subrev_u32_e32 v10, s24, v5
	v_cmp_le_u32_e32 vcc, s24, v5
	s_nop 1
	v_cndmask_b32_e32 v5, v5, v10, vcc
	v_cndmask_b32_e32 v1, v1, v7, vcc
	v_add_u32_e32 v7, 1, v1
	v_cmp_le_u32_e32 vcc, s24, v5
	s_nop 1
	v_cndmask_b32_e32 v86, v1, v7, vcc
.LBB0_6:                                ;   in Loop: Header=BB0_2 Depth=1
	s_or_b64 exec, exec, s[2:3]
	v_mad_u64_u32 v[10:11], s[2:3], v86, s24, 0
	s_load_dwordx2 s[2:3], s[18:19], 0x0
	s_add_u32 s22, s22, 1
	v_mul_lo_u32 v1, v87, s24
	v_mul_lo_u32 v5, v86, s25
	s_load_dwordx2 s[24:25], s[16:17], 0x0
	s_addc_u32 s23, s23, 0
	v_add3_u32 v1, v11, v5, v1
	v_sub_co_u32_e32 v5, vcc, v8, v10
	s_add_u32 s16, s16, 8
	s_nop 0
	v_subb_co_u32_e32 v1, vcc, v9, v1, vcc
	s_addc_u32 s17, s17, 0
	s_waitcnt lgkmcnt(0)
	v_mul_lo_u32 v7, s2, v1
	v_mul_lo_u32 v8, s3, v5
	v_mad_u64_u32 v[2:3], s[2:3], s2, v5, v[2:3]
	s_add_u32 s18, s18, 8
	v_add3_u32 v3, v8, v3, v7
	s_addc_u32 s19, s19, 0
	v_mov_b64_e32 v[8:9], s[10:11]
	v_mul_lo_u32 v1, s24, v1
	v_mul_lo_u32 v7, s25, v5
	v_mad_u64_u32 v[84:85], s[2:3], s24, v5, v[84:85]
	s_add_u32 s20, s20, 8
	v_cmp_ge_u64_e32 vcc, s[22:23], v[8:9]
	v_add3_u32 v85, v7, v85, v1
	s_addc_u32 s21, s21, 0
	s_cbranch_vccnz .LBB0_8
; %bb.7:                                ;   in Loop: Header=BB0_2 Depth=1
	v_mov_b64_e32 v[8:9], v[86:87]
	s_branch .LBB0_2
.LBB0_8:
	s_load_dwordx2 s[2:3], s[0:1], 0x28
	s_mov_b32 s0, 0xaaaaaaab
	v_mul_hi_u32 v1, v4, s0
	s_lshl_b64 s[16:17], s[10:11], 3
	v_lshrrev_b32_e32 v1, 1, v1
	s_add_u32 s10, s14, s16
	v_lshl_add_u32 v1, v1, 1, v1
	s_addc_u32 s11, s15, s17
	v_sub_u32_e32 v1, v4, v1
	s_waitcnt lgkmcnt(0)
	v_cmp_gt_u64_e64 s[0:1], s[2:3], v[86:87]
	v_cmp_le_u64_e32 vcc, s[2:3], v[86:87]
                                        ; implicit-def: $vgpr88
	s_and_saveexec_b64 s[2:3], vcc
	s_xor_b64 s[2:3], exec, s[2:3]
; %bb.9:
	s_mov_b32 s14, 0x3c3c3c4
	v_mul_hi_u32 v2, v0, s14
	v_mul_u32_u24_e32 v2, 0x44, v2
	v_sub_u32_e32 v88, v0, v2
                                        ; implicit-def: $vgpr0
                                        ; implicit-def: $vgpr2_vgpr3
; %bb.10:
	s_or_saveexec_b64 s[2:3], s[2:3]
	s_load_dwordx2 s[10:11], s[10:11], 0x0
	v_mul_u32_u24_e32 v4, 0x3fd, v1
	v_lshlrev_b32_e32 v254, 4, v4
	s_xor_b64 exec, exec, s[2:3]
	s_cbranch_execz .LBB0_14
; %bb.11:
	s_add_u32 s12, s12, s16
	s_addc_u32 s13, s13, s17
	s_load_dwordx2 s[12:13], s[12:13], 0x0
	s_mov_b32 s14, 0x3c3c3c4
	s_waitcnt lgkmcnt(0)
	v_mul_lo_u32 v1, s13, v86
	v_mul_lo_u32 v5, s12, v87
	v_mad_u64_u32 v[6:7], s[12:13], s12, v86, 0
	v_add3_u32 v7, v7, v5, v1
	v_mul_hi_u32 v1, v0, s14
	v_mul_u32_u24_e32 v1, 0x44, v1
	v_sub_u32_e32 v88, v0, v1
	v_lshl_add_u64 v[0:1], v[6:7], 4, s[4:5]
	v_lshl_add_u64 v[0:1], v[2:3], 4, v[0:1]
	v_lshlrev_b32_e32 v2, 4, v88
	v_mov_b32_e32 v3, 0
	v_lshl_add_u64 v[54:55], v[0:1], 0, v[2:3]
	s_movk_i32 s4, 0x1000
	v_add_co_u32_e32 v38, vcc, s4, v54
	s_movk_i32 s5, 0x2000
	s_nop 0
	v_addc_co_u32_e32 v39, vcc, 0, v55, vcc
	v_add_co_u32_e32 v56, vcc, s5, v54
	global_load_dwordx4 v[6:9], v[54:55], off
	global_load_dwordx4 v[10:13], v[54:55], off offset:1088
	v_addc_co_u32_e32 v57, vcc, 0, v55, vcc
	v_add_co_u32_e32 v66, vcc, 0x3000, v54
	global_load_dwordx4 v[14:17], v[54:55], off offset:2176
	global_load_dwordx4 v[18:21], v[54:55], off offset:3264
	v_addc_co_u32_e32 v67, vcc, 0, v55, vcc
	global_load_dwordx4 v[22:25], v[38:39], off offset:256
	global_load_dwordx4 v[26:29], v[38:39], off offset:1344
	;; [unrolled: 1-line block ×4, first 2 shown]
	s_nop 0
	global_load_dwordx4 v[38:41], v[56:57], off offset:512
	global_load_dwordx4 v[42:45], v[56:57], off offset:1600
	;; [unrolled: 1-line block ×4, first 2 shown]
	s_nop 0
	global_load_dwordx4 v[54:57], v[66:67], off offset:768
	global_load_dwordx4 v[58:61], v[66:67], off offset:1856
	;; [unrolled: 1-line block ×3, first 2 shown]
	s_movk_i32 s4, 0x43
	v_add3_u32 v2, 0, v254, v2
	v_cmp_eq_u32_e32 vcc, s4, v88
	s_waitcnt vmcnt(14)
	ds_write_b128 v2, v[6:9]
	s_waitcnt vmcnt(13)
	ds_write_b128 v2, v[10:13] offset:1088
	s_waitcnt vmcnt(12)
	ds_write_b128 v2, v[14:17] offset:2176
	s_waitcnt vmcnt(11)
	ds_write_b128 v2, v[18:21] offset:3264
	s_waitcnt vmcnt(10)
	ds_write_b128 v2, v[22:25] offset:4352
	s_waitcnt vmcnt(9)
	ds_write_b128 v2, v[26:29] offset:5440
	s_waitcnt vmcnt(8)
	ds_write_b128 v2, v[30:33] offset:6528
	s_waitcnt vmcnt(7)
	ds_write_b128 v2, v[34:37] offset:7616
	s_waitcnt vmcnt(6)
	ds_write_b128 v2, v[38:41] offset:8704
	s_waitcnt vmcnt(5)
	ds_write_b128 v2, v[42:45] offset:9792
	s_waitcnt vmcnt(4)
	ds_write_b128 v2, v[46:49] offset:10880
	s_waitcnt vmcnt(3)
	ds_write_b128 v2, v[50:53] offset:11968
	s_waitcnt vmcnt(2)
	ds_write_b128 v2, v[54:57] offset:13056
	s_waitcnt vmcnt(1)
	ds_write_b128 v2, v[58:61] offset:14144
	s_waitcnt vmcnt(0)
	ds_write_b128 v2, v[62:65] offset:15232
	s_and_saveexec_b64 s[4:5], vcc
	s_cbranch_execz .LBB0_13
; %bb.12:
	v_add_co_u32_e32 v0, vcc, 0x3000, v0
	v_mov_b32_e32 v88, 0x43
	s_nop 0
	v_addc_co_u32_e32 v1, vcc, 0, v1, vcc
	global_load_dwordx4 v[6:9], v[0:1], off offset:4032
	s_waitcnt vmcnt(0)
	ds_write_b128 v2, v[6:9] offset:15248
.LBB0_13:
	s_or_b64 exec, exec, s[4:5]
.LBB0_14:
	s_or_b64 exec, exec, s[2:3]
	v_lshl_add_u32 v176, v4, 4, 0
	v_lshlrev_b32_e32 v0, 4, v88
	v_add_u32_e32 v255, v176, v0
	s_waitcnt lgkmcnt(0)
	s_barrier
	v_sub_u32_e32 v14, v176, v0
	ds_read_b64 v[2:3], v255
	ds_read_b64 v[8:9], v14 offset:16320
	s_add_u32 s2, s8, 0x3fa0
	s_addc_u32 s3, s9, 0
	v_cmp_ne_u32_e32 vcc, 0, v88
                                        ; implicit-def: $vgpr0_vgpr1
	s_waitcnt lgkmcnt(0)
	v_add_f64 v[4:5], v[2:3], v[8:9]
	v_add_f64 v[6:7], v[2:3], -v[8:9]
	s_and_saveexec_b64 s[4:5], vcc
	s_xor_b64 s[4:5], exec, s[4:5]
	s_cbranch_execz .LBB0_16
; %bb.15:
	v_mov_b32_e32 v89, 0
	v_lshl_add_u64 v[0:1], v[88:89], 4, s[2:3]
	global_load_dwordx4 v[10:13], v[0:1], off
	ds_read_b64 v[0:1], v14 offset:16328
	ds_read_b64 v[4:5], v255 offset:8
	v_add_f64 v[16:17], v[2:3], v[8:9]
	v_add_f64 v[8:9], v[2:3], -v[8:9]
	s_waitcnt lgkmcnt(0)
	v_add_f64 v[18:19], v[0:1], v[4:5]
	v_add_f64 v[2:3], v[4:5], -v[0:1]
	s_waitcnt vmcnt(0)
	v_fma_f64 v[6:7], v[18:19], v[12:13], v[2:3]
	v_fma_f64 v[0:1], -v[8:9], v[12:13], v[16:17]
	v_fma_f64 v[2:3], v[18:19], v[12:13], -v[2:3]
	v_fma_f64 v[4:5], v[8:9], v[12:13], v[16:17]
	v_fmac_f64_e32 v[0:1], v[18:19], v[10:11]
	v_fmac_f64_e32 v[2:3], v[8:9], v[10:11]
	v_fma_f64 v[4:5], -v[18:19], v[10:11], v[4:5]
	v_fmac_f64_e32 v[6:7], v[8:9], v[10:11]
	ds_write_b128 v14, v[0:3] offset:16320
	v_mov_b64_e32 v[0:1], v[88:89]
.LBB0_16:
	s_andn2_saveexec_b64 s[4:5], s[4:5]
	s_cbranch_execz .LBB0_18
; %bb.17:
	ds_read_b128 v[0:3], v176 offset:8160
	s_waitcnt lgkmcnt(0)
	v_add_f64 v[0:1], v[0:1], v[0:1]
	v_mul_f64 v[2:3], v[2:3], -2.0
	ds_write_b128 v176, v[0:3] offset:8160
	v_mov_b64_e32 v[0:1], 0
.LBB0_18:
	s_or_b64 exec, exec, s[4:5]
	v_lshl_add_u64 v[12:13], v[0:1], 4, s[2:3]
	global_load_dwordx4 v[0:3], v[12:13], off offset:1088
	global_load_dwordx4 v[8:11], v[12:13], off offset:2176
	;; [unrolled: 1-line block ×3, first 2 shown]
	v_add_u32_e32 v90, 0x110, v88
	v_mov_b32_e32 v91, 0
	v_lshl_add_u64 v[20:21], v[90:91], 4, s[2:3]
	global_load_dwordx4 v[20:23], v[20:21], off
	v_add_u32_e32 v92, 0x154, v88
	v_mov_b32_e32 v93, v91
	ds_write_b128 v255, v[4:7]
	v_lshl_add_u64 v[28:29], v[92:93], 4, s[2:3]
	ds_read_b128 v[4:7], v255 offset:1088
	ds_read_b128 v[24:27], v14 offset:15232
	global_load_dwordx4 v[28:31], v[28:29], off
	s_movk_i32 s4, 0x1000
	v_lshl_add_u32 v15, v90, 4, v176
	s_waitcnt lgkmcnt(0)
	v_add_f64 v[32:33], v[4:5], v[24:25]
	v_add_f64 v[34:35], v[26:27], v[6:7]
	v_add_f64 v[36:37], v[4:5], -v[24:25]
	v_add_f64 v[6:7], v[6:7], -v[26:27]
	s_waitcnt vmcnt(4)
	v_fma_f64 v[38:39], v[36:37], v[2:3], v[32:33]
	v_fma_f64 v[4:5], v[34:35], v[2:3], v[6:7]
	v_fma_f64 v[24:25], -v[36:37], v[2:3], v[32:33]
	v_fma_f64 v[26:27], v[34:35], v[2:3], -v[6:7]
	v_fma_f64 v[2:3], -v[34:35], v[0:1], v[38:39]
	v_fmac_f64_e32 v[4:5], v[36:37], v[0:1]
	v_fmac_f64_e32 v[24:25], v[34:35], v[0:1]
	v_fmac_f64_e32 v[26:27], v[36:37], v[0:1]
	v_add_co_u32_e32 v0, vcc, s4, v12
	ds_write_b128 v255, v[2:5] offset:1088
	ds_write_b128 v14, v[24:27] offset:15232
	v_addc_co_u32_e32 v1, vcc, 0, v13, vcc
	ds_read_b128 v[2:5], v255 offset:2176
	ds_read_b128 v[24:27], v14 offset:14144
	global_load_dwordx4 v[32:35], v[0:1], off offset:2432
	v_cmp_gt_u32_e32 vcc, 34, v88
	s_waitcnt lgkmcnt(0)
	v_add_f64 v[6:7], v[2:3], v[24:25]
	v_add_f64 v[12:13], v[26:27], v[4:5]
	v_add_f64 v[36:37], v[2:3], -v[24:25]
	v_add_f64 v[2:3], v[4:5], -v[26:27]
	s_waitcnt vmcnt(4)
	v_fma_f64 v[38:39], v[36:37], v[10:11], v[6:7]
	v_fma_f64 v[4:5], v[12:13], v[10:11], v[2:3]
	v_fma_f64 v[24:25], -v[36:37], v[10:11], v[6:7]
	v_fma_f64 v[26:27], v[12:13], v[10:11], -v[2:3]
	v_fma_f64 v[2:3], -v[12:13], v[8:9], v[38:39]
	v_fmac_f64_e32 v[4:5], v[36:37], v[8:9]
	v_fmac_f64_e32 v[24:25], v[12:13], v[8:9]
	v_fmac_f64_e32 v[26:27], v[36:37], v[8:9]
	ds_write_b128 v255, v[2:5] offset:2176
	ds_write_b128 v14, v[24:27] offset:14144
	ds_read_b128 v[2:5], v255 offset:3264
	ds_read_b128 v[6:9], v14 offset:13056
	s_waitcnt lgkmcnt(0)
	v_add_f64 v[10:11], v[2:3], v[6:7]
	v_add_f64 v[12:13], v[8:9], v[4:5]
	v_add_f64 v[24:25], v[2:3], -v[6:7]
	v_add_f64 v[2:3], v[4:5], -v[8:9]
	s_waitcnt vmcnt(3)
	v_fma_f64 v[26:27], v[24:25], v[18:19], v[10:11]
	v_fma_f64 v[4:5], v[12:13], v[18:19], v[2:3]
	v_fma_f64 v[6:7], -v[24:25], v[18:19], v[10:11]
	v_fma_f64 v[8:9], v[12:13], v[18:19], -v[2:3]
	v_fma_f64 v[2:3], -v[12:13], v[16:17], v[26:27]
	v_fmac_f64_e32 v[4:5], v[24:25], v[16:17]
	v_fmac_f64_e32 v[6:7], v[12:13], v[16:17]
	;; [unrolled: 1-line block ×3, first 2 shown]
	ds_write_b128 v255, v[2:5] offset:3264
	ds_write_b128 v14, v[6:9] offset:13056
	ds_read_b128 v[2:5], v15
	ds_read_b128 v[6:9], v14 offset:11968
	v_lshl_add_u32 v24, v92, 4, v176
	s_waitcnt lgkmcnt(0)
	v_add_f64 v[10:11], v[2:3], v[6:7]
	v_add_f64 v[12:13], v[8:9], v[4:5]
	v_add_f64 v[16:17], v[2:3], -v[6:7]
	v_add_f64 v[2:3], v[4:5], -v[8:9]
	s_waitcnt vmcnt(2)
	v_fma_f64 v[18:19], v[16:17], v[22:23], v[10:11]
	v_fma_f64 v[4:5], v[12:13], v[22:23], v[2:3]
	v_fma_f64 v[6:7], -v[16:17], v[22:23], v[10:11]
	v_fma_f64 v[8:9], v[12:13], v[22:23], -v[2:3]
	v_fma_f64 v[2:3], -v[12:13], v[20:21], v[18:19]
	v_fmac_f64_e32 v[4:5], v[16:17], v[20:21]
	v_fmac_f64_e32 v[6:7], v[12:13], v[20:21]
	;; [unrolled: 1-line block ×3, first 2 shown]
	ds_write_b128 v15, v[2:5]
	ds_write_b128 v14, v[6:9] offset:11968
	ds_read_b128 v[2:5], v24
	ds_read_b128 v[6:9], v14 offset:10880
	s_waitcnt lgkmcnt(0)
	v_add_f64 v[10:11], v[2:3], v[6:7]
	v_add_f64 v[12:13], v[8:9], v[4:5]
	v_add_f64 v[16:17], v[2:3], -v[6:7]
	v_add_f64 v[2:3], v[4:5], -v[8:9]
	s_waitcnt vmcnt(1)
	v_fma_f64 v[18:19], v[16:17], v[30:31], v[10:11]
	v_fma_f64 v[4:5], v[12:13], v[30:31], v[2:3]
	v_fma_f64 v[6:7], -v[16:17], v[30:31], v[10:11]
	v_fma_f64 v[8:9], v[12:13], v[30:31], -v[2:3]
	v_fma_f64 v[2:3], -v[12:13], v[28:29], v[18:19]
	v_fmac_f64_e32 v[4:5], v[16:17], v[28:29]
	v_fmac_f64_e32 v[6:7], v[12:13], v[28:29]
	;; [unrolled: 1-line block ×3, first 2 shown]
	ds_write_b128 v24, v[2:5]
	ds_write_b128 v14, v[6:9] offset:10880
	ds_read_b128 v[2:5], v255 offset:6528
	ds_read_b128 v[6:9], v14 offset:9792
	s_waitcnt lgkmcnt(0)
	v_add_f64 v[10:11], v[2:3], v[6:7]
	v_add_f64 v[12:13], v[8:9], v[4:5]
	v_add_f64 v[16:17], v[2:3], -v[6:7]
	v_add_f64 v[2:3], v[4:5], -v[8:9]
	s_waitcnt vmcnt(0)
	v_fma_f64 v[18:19], v[16:17], v[34:35], v[10:11]
	v_fma_f64 v[4:5], v[12:13], v[34:35], v[2:3]
	v_fma_f64 v[6:7], -v[16:17], v[34:35], v[10:11]
	v_fma_f64 v[8:9], v[12:13], v[34:35], -v[2:3]
	v_fma_f64 v[2:3], -v[12:13], v[32:33], v[18:19]
	v_fmac_f64_e32 v[4:5], v[16:17], v[32:33]
	v_fmac_f64_e32 v[6:7], v[12:13], v[32:33]
	;; [unrolled: 1-line block ×3, first 2 shown]
	ds_write_b128 v255, v[2:5] offset:6528
	ds_write_b128 v14, v[6:9] offset:9792
	s_and_saveexec_b64 s[2:3], vcc
	s_cbranch_execz .LBB0_20
; %bb.19:
	global_load_dwordx4 v[0:3], v[0:1], off offset:3520
	ds_read_b128 v[4:7], v255 offset:7616
	ds_read_b128 v[8:11], v14 offset:8704
	s_waitcnt lgkmcnt(0)
	v_add_f64 v[12:13], v[4:5], v[8:9]
	v_add_f64 v[16:17], v[10:11], v[6:7]
	v_add_f64 v[18:19], v[4:5], -v[8:9]
	v_add_f64 v[8:9], v[6:7], -v[10:11]
	s_waitcnt vmcnt(0)
	v_fma_f64 v[10:11], v[18:19], v[2:3], v[12:13]
	v_fma_f64 v[4:5], v[16:17], v[2:3], v[8:9]
	v_fma_f64 v[6:7], -v[18:19], v[2:3], v[12:13]
	v_fma_f64 v[8:9], v[16:17], v[2:3], -v[8:9]
	v_fma_f64 v[2:3], -v[16:17], v[0:1], v[10:11]
	v_fmac_f64_e32 v[4:5], v[18:19], v[0:1]
	v_fmac_f64_e32 v[6:7], v[16:17], v[0:1]
	;; [unrolled: 1-line block ×3, first 2 shown]
	ds_write_b128 v255, v[2:5] offset:7616
	ds_write_b128 v14, v[6:9] offset:8704
.LBB0_20:
	s_or_b64 exec, exec, s[2:3]
	v_lshl_add_u32 v0, v88, 4, 0
	v_add_u32_e32 v89, v0, v254
	s_waitcnt lgkmcnt(0)
	s_barrier
	s_barrier
	ds_read_b128 v[0:3], v255
	ds_read_b128 v[8:11], v89 offset:1088
	ds_read_b128 v[4:7], v89 offset:8160
	;; [unrolled: 1-line block ×15, first 2 shown]
	s_waitcnt lgkmcnt(13)
	v_add_f64 v[4:5], v[0:1], -v[4:5]
	v_add_f64 v[6:7], v[2:3], -v[6:7]
	v_fma_f64 v[0:1], v[0:1], 2.0, -v[4:5]
	s_waitcnt lgkmcnt(2)
	v_add_f64 v[52:53], v[56:57], -v[48:49]
	s_waitcnt lgkmcnt(0)
	v_add_f64 v[60:61], v[64:65], -v[60:61]
	v_fma_f64 v[48:49], v[56:57], 2.0, -v[52:53]
	v_fma_f64 v[56:57], v[64:65], 2.0, -v[60:61]
	v_lshlrev_b32_e32 v64, 5, v88
	v_fma_f64 v[2:3], v[2:3], 2.0, -v[6:7]
	v_add3_u32 v64, 0, v64, v254
	v_add_u32_e32 v177, 0x44, v88
	v_add_f64 v[12:13], v[8:9], -v[12:13]
	v_add_f64 v[14:15], v[10:11], -v[14:15]
	s_barrier
	ds_write_b128 v64, v[0:3]
	ds_write_b128 v64, v[4:7] offset:16
	v_lshlrev_b32_e32 v64, 5, v177
	v_fma_f64 v[8:9], v[8:9], 2.0, -v[12:13]
	v_fma_f64 v[10:11], v[10:11], 2.0, -v[14:15]
	v_add3_u32 v64, 0, v64, v254
	v_add_u32_e32 v91, 0x88, v88
	v_add_f64 v[20:21], v[16:17], -v[20:21]
	v_add_f64 v[22:23], v[18:19], -v[22:23]
	ds_write_b128 v64, v[8:11]
	ds_write_b128 v64, v[12:15] offset:16
	v_lshlrev_b32_e32 v64, 5, v91
	v_fma_f64 v[16:17], v[16:17], 2.0, -v[20:21]
	v_fma_f64 v[18:19], v[18:19], 2.0, -v[22:23]
	v_add3_u32 v64, 0, v64, v254
	v_add_u32_e32 v93, 0xcc, v88
	v_add_f64 v[28:29], v[24:25], -v[28:29]
	v_add_f64 v[30:31], v[26:27], -v[30:31]
	ds_write_b128 v64, v[16:19]
	ds_write_b128 v64, v[20:23] offset:16
	v_lshlrev_b32_e32 v64, 5, v93
	v_fma_f64 v[24:25], v[24:25], 2.0, -v[28:29]
	v_fma_f64 v[26:27], v[26:27], 2.0, -v[30:31]
	v_add3_u32 v64, 0, v64, v254
	v_add_f64 v[36:37], v[32:33], -v[36:37]
	v_add_f64 v[38:39], v[34:35], -v[38:39]
	ds_write_b128 v64, v[24:27]
	ds_write_b128 v64, v[28:31] offset:16
	v_lshlrev_b32_e32 v64, 5, v90
	v_fma_f64 v[32:33], v[32:33], 2.0, -v[36:37]
	v_fma_f64 v[34:35], v[34:35], 2.0, -v[38:39]
	v_add3_u32 v64, 0, v64, v254
	;; [unrolled: 8-line block ×3, first 2 shown]
	v_add_u32_e32 v179, 0x198, v88
	v_add_f64 v[54:55], v[58:59], -v[50:51]
	v_add_f64 v[62:63], v[66:67], -v[62:63]
	ds_write_b128 v64, v[44:47]
	ds_write_b128 v64, v[40:43] offset:16
	v_lshlrev_b32_e32 v64, 5, v179
	v_fma_f64 v[50:51], v[58:59], 2.0, -v[54:55]
	v_fma_f64 v[58:59], v[66:67], 2.0, -v[62:63]
	v_add3_u32 v64, 0, v64, v254
	v_add_u32_e32 v178, 0x1dc, v88
	ds_write_b128 v64, v[48:51]
	ds_write_b128 v64, v[52:55] offset:16
	s_and_saveexec_b64 s[2:3], vcc
	s_cbranch_execz .LBB0_22
; %bb.21:
	v_lshlrev_b32_e32 v64, 5, v178
	v_add3_u32 v64, 0, v64, v254
	ds_write_b128 v64, v[56:59]
	ds_write_b128 v64, v[60:63] offset:16
.LBB0_22:
	s_or_b64 exec, exec, s[2:3]
	v_cmp_gt_u32_e64 s[2:3], 60, v88
	s_waitcnt lgkmcnt(0)
	s_barrier
	s_waitcnt lgkmcnt(0)
                                        ; implicit-def: $vgpr66_vgpr67
	s_and_saveexec_b64 s[4:5], s[2:3]
	s_cbranch_execz .LBB0_24
; %bb.23:
	ds_read_b128 v[0:3], v255
	ds_read_b128 v[4:7], v89 offset:960
	ds_read_b128 v[8:11], v89 offset:1920
	;; [unrolled: 1-line block ×16, first 2 shown]
.LBB0_24:
	s_or_b64 exec, exec, s[4:5]
	v_and_b32_e32 v186, 1, v88
	v_lshlrev_b32_e32 v94, 8, v186
	global_load_dwordx4 v[80:83], v94, s[8:9]
	global_load_dwordx4 v[76:79], v94, s[8:9] offset:16
	global_load_dwordx4 v[72:75], v94, s[8:9] offset:32
	;; [unrolled: 1-line block ×15, first 2 shown]
	s_mov_b32 s14, 0x2a9d6da3
	s_mov_b32 s4, 0x75d4884
	;; [unrolled: 1-line block ×42, first 2 shown]
	s_waitcnt lgkmcnt(0)
	s_barrier
	s_waitcnt vmcnt(15)
	v_mul_f64 v[94:95], v[6:7], v[82:83]
	v_mul_f64 v[166:167], v[4:5], v[82:83]
	s_waitcnt vmcnt(14)
	v_mul_f64 v[82:83], v[10:11], v[78:79]
	v_mul_f64 v[168:169], v[8:9], v[78:79]
	v_fmac_f64_e32 v[94:95], v[4:5], v[80:81]
	v_fma_f64 v[80:81], v[6:7], v[80:81], -v[166:167]
	s_waitcnt vmcnt(13)
	v_mul_f64 v[78:79], v[14:15], v[74:75]
	v_mul_f64 v[170:171], v[12:13], v[74:75]
	s_waitcnt vmcnt(12)
	v_mul_f64 v[74:75], v[18:19], v[70:71]
	v_mul_f64 v[172:173], v[16:17], v[70:71]
	;; [unrolled: 3-line block ×6, first 2 shown]
	v_mul_f64 v[114:115], v[62:63], v[160:161]
	v_mul_f64 v[160:161], v[60:61], v[160:161]
	v_fmac_f64_e32 v[110:111], v[52:53], v[150:151]
	v_fma_f64 v[52:53], v[54:55], v[150:151], -v[152:153]
	v_fma_f64 v[54:55], v[58:59], v[154:155], -v[156:157]
	;; [unrolled: 1-line block ×3, first 2 shown]
	v_mul_f64 v[96:97], v[26:27], v[124:125]
	v_mul_f64 v[124:125], v[24:25], v[124:125]
	;; [unrolled: 1-line block ×6, first 2 shown]
	v_fmac_f64_e32 v[82:83], v[8:9], v[76:77]
	v_fma_f64 v[76:77], v[10:11], v[76:77], -v[168:169]
	v_fmac_f64_e32 v[112:113], v[56:57], v[154:155]
	v_fma_f64 v[56:57], v[62:63], v[158:159], -v[160:161]
	v_fmac_f64_e32 v[116:117], v[64:65], v[162:163]
	v_add_f64 v[66:67], v[80:81], -v[58:59]
	v_fmac_f64_e32 v[78:79], v[12:13], v[72:73]
	v_fma_f64 v[72:73], v[14:15], v[72:73], -v[170:171]
	v_fmac_f64_e32 v[70:71], v[20:21], v[118:119]
	v_fma_f64 v[118:119], v[22:23], v[118:119], -v[120:121]
	v_fmac_f64_e32 v[96:97], v[24:25], v[122:123]
	v_fma_f64 v[120:121], v[26:27], v[122:123], -v[124:125]
	v_fma_f64 v[122:123], v[30:31], v[126:127], -v[128:129]
	v_fma_f64 v[128:129], v[46:47], v[138:139], -v[140:141]
	v_fmac_f64_e32 v[114:115], v[60:61], v[158:159]
	v_add_f64 v[60:61], v[94:95], v[116:117]
	v_mul_f64 v[14:15], v[66:67], s[14:15]
	v_add_f64 v[140:141], v[76:77], -v[56:57]
	v_mul_f64 v[102:103], v[38:39], v[136:137]
	v_mul_f64 v[136:137], v[36:37], v[136:137]
	v_fmac_f64_e32 v[74:75], v[16:17], v[68:69]
	v_add_f64 v[62:63], v[80:81], v[58:59]
	v_fma_f64 v[4:5], v[60:61], s[4:5], -v[14:15]
	v_add_f64 v[64:65], v[82:83], v[114:115]
	v_mul_f64 v[16:17], v[140:141], s[18:19]
	v_mul_f64 v[100:101], v[34:35], v[132:133]
	;; [unrolled: 1-line block ×5, first 2 shown]
	v_fma_f64 v[68:69], v[18:19], v[68:69], -v[172:173]
	v_fmac_f64_e32 v[98:99], v[28:29], v[126:127]
	v_fmac_f64_e32 v[102:103], v[36:37], v[134:135]
	v_fma_f64 v[126:127], v[38:39], v[134:135], -v[136:137]
	v_fmac_f64_e32 v[104:105], v[44:45], v[138:139]
	v_add_f64 v[134:135], v[94:95], -v[116:117]
	v_add_f64 v[4:5], v[0:1], v[4:5]
	v_fma_f64 v[6:7], v[64:65], s[12:13], -v[16:17]
	v_mul_f64 v[18:19], v[62:63], s[4:5]
	v_add_f64 v[138:139], v[76:77], v[56:57]
	v_mul_f64 v[106:107], v[42:43], v[144:145]
	v_mul_f64 v[144:145], v[40:41], v[144:145]
	v_fma_f64 v[124:125], v[34:35], v[130:131], -v[132:133]
	v_fma_f64 v[132:133], v[50:51], v[146:147], -v[148:149]
	v_add_f64 v[4:5], v[6:7], v[4:5]
	v_fma_f64 v[6:7], s[14:15], v[134:135], v[18:19]
	v_add_f64 v[150:151], v[82:83], -v[114:115]
	v_mul_f64 v[20:21], v[138:139], s[12:13]
	v_add_f64 v[148:149], v[72:73], -v[54:55]
	v_fmac_f64_e32 v[100:101], v[32:33], v[130:131]
	v_fma_f64 v[130:131], v[42:43], v[142:143], -v[144:145]
	v_add_f64 v[6:7], v[2:3], v[6:7]
	v_fma_f64 v[8:9], s[18:19], v[150:151], v[20:21]
	v_add_f64 v[136:137], v[78:79], v[112:113]
	v_mul_f64 v[22:23], v[148:149], s[22:23]
	v_add_f64 v[144:145], v[72:73], v[54:55]
	v_add_f64 v[6:7], v[8:9], v[6:7]
	v_fma_f64 v[8:9], v[136:137], s[16:17], -v[22:23]
	v_add_f64 v[158:159], v[78:79], -v[112:113]
	v_mul_f64 v[24:25], v[144:145], s[16:17]
	v_add_f64 v[160:161], v[68:69], -v[52:53]
	v_fmac_f64_e32 v[108:109], v[48:49], v[146:147]
	v_add_f64 v[4:5], v[8:9], v[4:5]
	v_fma_f64 v[8:9], s[22:23], v[158:159], v[24:25]
	v_add_f64 v[146:147], v[74:75], v[110:111]
	v_mul_f64 v[26:27], v[160:161], s[28:29]
	v_add_f64 v[154:155], v[68:69], v[52:53]
	v_add_f64 v[6:7], v[8:9], v[6:7]
	v_fma_f64 v[8:9], v[146:147], s[20:21], -v[26:27]
	v_add_f64 v[172:173], v[74:75], -v[110:111]
	v_mul_f64 v[28:29], v[154:155], s[20:21]
	v_add_f64 v[174:175], v[118:119], -v[132:133]
	v_add_f64 v[4:5], v[8:9], v[4:5]
	v_fma_f64 v[8:9], s[28:29], v[172:173], v[28:29]
	v_add_f64 v[156:157], v[70:71], v[108:109]
	v_mul_f64 v[30:31], v[174:175], s[42:43]
	v_add_f64 v[170:171], v[118:119], v[132:133]
	v_fmac_f64_e32 v[106:107], v[40:41], v[142:143]
	v_add_f64 v[6:7], v[8:9], v[6:7]
	v_fma_f64 v[8:9], v[156:157], s[24:25], -v[30:31]
	v_add_f64 v[188:189], v[70:71], -v[108:109]
	v_mul_f64 v[202:203], v[170:171], s[24:25]
	v_add_f64 v[184:185], v[120:121], -v[130:131]
	v_add_f64 v[4:5], v[8:9], v[4:5]
	v_fma_f64 v[8:9], s[42:43], v[188:189], v[202:203]
	v_add_f64 v[168:169], v[96:97], v[106:107]
	v_mul_f64 v[204:205], v[184:185], s[46:47]
	v_add_f64 v[180:181], v[120:121], v[130:131]
	v_add_f64 v[6:7], v[8:9], v[6:7]
	v_fma_f64 v[8:9], v[168:169], s[30:31], -v[204:205]
	v_add_f64 v[196:197], v[96:97], -v[106:107]
	v_mul_f64 v[210:211], v[180:181], s[30:31]
	v_add_f64 v[198:199], v[122:123], -v[128:129]
	v_add_f64 v[4:5], v[8:9], v[4:5]
	v_fma_f64 v[8:9], s[46:47], v[196:197], v[210:211]
	v_add_f64 v[182:183], v[98:99], v[104:105]
	v_mul_f64 v[212:213], v[198:199], s[48:49]
	v_add_f64 v[190:191], v[122:123], v[128:129]
	;; [unrolled: 10-line block ×3, first 2 shown]
	v_add_f64 v[6:7], v[8:9], v[6:7]
	v_fma_f64 v[8:9], v[192:193], s[36:37], -v[218:219]
	v_add_f64 v[214:215], v[100:101], -v[102:103]
	v_mul_f64 v[220:221], v[200:201], s[36:37]
	v_add_f64 v[4:5], v[8:9], v[4:5]
	v_fma_f64 v[8:9], s[52:53], v[214:215], v[220:221]
	v_mul_f64 v[222:223], v[66:67], s[38:39]
	v_add_f64 v[6:7], v[8:9], v[6:7]
	v_fma_f64 v[8:9], v[60:61], s[34:35], -v[222:223]
	v_mul_f64 v[224:225], v[140:141], s[22:23]
	v_add_f64 v[8:9], v[0:1], v[8:9]
	v_fma_f64 v[10:11], v[64:65], s[16:17], -v[224:225]
	v_mul_f64 v[234:235], v[62:63], s[34:35]
	v_add_f64 v[8:9], v[10:11], v[8:9]
	v_fma_f64 v[10:11], s[38:39], v[134:135], v[234:235]
	v_mul_f64 v[238:239], v[138:139], s[16:17]
	v_add_f64 v[10:11], v[2:3], v[10:11]
	v_fma_f64 v[12:13], s[22:23], v[150:151], v[238:239]
	v_mul_f64 v[226:227], v[148:149], s[44:45]
	v_add_f64 v[10:11], v[12:13], v[10:11]
	v_fma_f64 v[12:13], v[136:137], s[20:21], -v[226:227]
	v_mul_f64 v[240:241], v[144:145], s[20:21]
	v_add_f64 v[8:9], v[12:13], v[8:9]
	v_fma_f64 v[12:13], s[44:45], v[158:159], v[240:241]
	v_mul_f64 v[228:229], v[160:161], s[46:47]
	v_add_f64 v[10:11], v[12:13], v[10:11]
	v_fma_f64 v[12:13], v[146:147], s[30:31], -v[228:229]
	;; [unrolled: 6-line block ×6, first 2 shown]
	v_mul_f64 v[252:253], v[200:201], s[24:25]
	v_add_f64 v[8:9], v[12:13], v[8:9]
	v_fma_f64 v[12:13], s[50:51], v[214:215], v[252:253]
	v_add_f64 v[10:11], v[12:13], v[10:11]
	s_and_saveexec_b64 s[26:27], s[2:3]
	s_cbranch_execz .LBB0_26
; %bb.25:
	v_mul_f64 v[40:41], v[134:135], s[28:29]
	v_mul_f64 v[36:37], v[150:151], s[52:53]
	v_fma_f64 v[42:43], s[20:21], v[62:63], v[40:41]
	v_accvgpr_write_b32 a35, v29
	v_mul_f64 v[32:33], v[158:159], s[50:51]
	v_fma_f64 v[38:39], s[36:37], v[138:139], v[36:37]
	v_add_f64 v[42:43], v[2:3], v[42:43]
	v_accvgpr_write_b32 a33, v25
	v_accvgpr_write_b32 a34, v28
	v_mul_f64 v[28:29], v[172:173], s[54:55]
	v_accvgpr_write_b32 a26, v30
	v_fma_f64 v[34:35], s[24:25], v[144:145], v[32:33]
	v_add_f64 v[38:39], v[38:39], v[42:43]
	v_accvgpr_write_b32 a31, v21
	v_accvgpr_write_b32 a32, v24
	v_mul_f64 v[24:25], v[188:189], s[22:23]
	v_accvgpr_write_b32 a24, v26
	v_accvgpr_write_b32 a27, v31
	v_fma_f64 v[30:31], s[4:5], v[154:155], v[28:29]
	v_add_f64 v[34:35], v[34:35], v[38:39]
	s_mov_b32 s3, 0xbfeec746
	s_mov_b32 s2, s46
	v_accvgpr_write_b32 a29, v19
	v_accvgpr_write_b32 a30, v20
	v_mul_f64 v[20:21], v[196:197], s[48:49]
	v_accvgpr_write_b32 a22, v22
	v_accvgpr_write_b32 a25, v27
	v_fma_f64 v[26:27], s[16:17], v[170:171], v[24:25]
	v_add_f64 v[30:31], v[30:31], v[34:35]
	s_mov_b32 s59, 0x3fefdd0d
	s_mov_b32 s58, s18
	v_accvgpr_write_b32 a19, v17
	v_accvgpr_write_b32 a28, v18
	v_mul_f64 v[18:19], v[208:209], s[2:3]
	v_accvgpr_write_b32 a21, v15
	v_accvgpr_write_b32 a23, v23
	v_fma_f64 v[22:23], s[34:35], v[180:181], v[20:21]
	v_add_f64 v[26:27], v[26:27], v[30:31]
	v_accvgpr_write_b32 a18, v16
	v_mul_f64 v[16:17], v[214:215], s[58:59]
	v_accvgpr_write_b32 a20, v14
	v_fma_f64 v[14:15], s[30:31], v[190:191], v[18:19]
	v_add_f64 v[22:23], v[22:23], v[26:27]
	v_fma_f64 v[12:13], s[12:13], v[200:201], v[16:17]
	v_add_f64 v[14:15], v[14:15], v[22:23]
	v_mul_f64 v[50:51], v[66:67], s[28:29]
	v_add_f64 v[164:165], v[12:13], v[14:15]
	v_mul_f64 v[46:47], v[140:141], s[52:53]
	v_fma_f64 v[14:15], v[60:61], s[20:21], -v[50:51]
	v_mul_f64 v[44:45], v[148:149], s[50:51]
	v_fma_f64 v[48:49], v[64:65], s[36:37], -v[46:47]
	v_add_f64 v[14:15], v[0:1], v[14:15]
	v_mul_f64 v[42:43], v[160:161], s[54:55]
	v_add_f64 v[14:15], v[48:49], v[14:15]
	v_fma_f64 v[48:49], v[136:137], s[24:25], -v[44:45]
	v_mul_f64 v[38:39], v[174:175], s[22:23]
	v_add_f64 v[14:15], v[48:49], v[14:15]
	v_fma_f64 v[48:49], v[146:147], s[4:5], -v[42:43]
	;; [unrolled: 3-line block ×4, first 2 shown]
	v_mul_f64 v[22:23], v[206:207], s[58:59]
	v_fma_f64 v[30:31], v[182:183], s[30:31], -v[26:27]
	v_add_f64 v[14:15], v[48:49], v[14:15]
	v_fma_f64 v[12:13], v[192:193], s[12:13], -v[22:23]
	v_add_f64 v[14:15], v[30:31], v[14:15]
	;; [unrolled: 2-line block ×3, first 2 shown]
	v_fma_f64 v[12:13], v[200:201], s[12:13], -v[16:17]
	v_fma_f64 v[16:17], v[180:181], s[34:35], -v[20:21]
	;; [unrolled: 1-line block ×4, first 2 shown]
	v_add_f64 v[30:31], v[2:3], v[30:31]
	v_fma_f64 v[14:15], v[190:191], s[30:31], -v[18:19]
	v_fma_f64 v[18:19], v[170:171], s[16:17], -v[24:25]
	v_fma_f64 v[24:25], v[144:145], s[24:25], -v[32:33]
	v_add_f64 v[28:29], v[28:29], v[30:31]
	v_add_f64 v[24:25], v[24:25], v[28:29]
	;; [unrolled: 1-line block ×6, first 2 shown]
	v_fmac_f64_e32 v[50:51], s[20:21], v[60:61]
	v_add_f64 v[14:15], v[12:13], v[14:15]
	v_fmac_f64_e32 v[46:47], s[36:37], v[64:65]
	v_add_f64 v[12:13], v[0:1], v[50:51]
	;; [unrolled: 2-line block ×5, first 2 shown]
	v_mul_f64 v[42:43], v[134:135], s[50:51]
	v_fmac_f64_e32 v[34:35], s[34:35], v[168:169]
	v_add_f64 v[12:13], v[38:39], v[12:13]
	v_mul_f64 v[38:39], v[150:151], s[48:49]
	v_fma_f64 v[44:45], s[24:25], v[62:63], v[42:43]
	v_fmac_f64_e32 v[26:27], s[30:31], v[182:183]
	v_add_f64 v[12:13], v[34:35], v[12:13]
	s_mov_b32 s57, 0x3fe9895b
	s_mov_b32 s56, s22
	v_mul_f64 v[34:35], v[158:159], s[18:19]
	v_fma_f64 v[40:41], s[34:35], v[138:139], v[38:39]
	v_add_f64 v[44:45], v[2:3], v[44:45]
	v_fmac_f64_e32 v[22:23], s[12:13], v[192:193]
	v_add_f64 v[12:13], v[26:27], v[12:13]
	v_mul_f64 v[30:31], v[172:173], s[56:57]
	v_fma_f64 v[36:37], s[12:13], v[144:145], v[34:35]
	v_add_f64 v[40:41], v[40:41], v[44:45]
	v_add_f64 v[12:13], v[22:23], v[12:13]
	v_mul_f64 v[26:27], v[188:189], s[40:41]
	v_fma_f64 v[32:33], s[16:17], v[154:155], v[30:31]
	v_add_f64 v[36:37], v[36:37], v[40:41]
	v_accvgpr_write_b32 a10, v12
	v_mul_f64 v[24:25], v[196:197], s[28:29]
	v_fma_f64 v[28:29], s[36:37], v[170:171], v[26:27]
	v_add_f64 v[32:33], v[32:33], v[36:37]
	v_accvgpr_write_b32 a11, v13
	v_accvgpr_write_b32 a12, v14
	;; [unrolled: 1-line block ×3, first 2 shown]
	v_mul_f64 v[14:15], v[208:209], s[54:55]
	v_fma_f64 v[22:23], s[20:21], v[180:181], v[24:25]
	v_add_f64 v[28:29], v[28:29], v[32:33]
	v_mul_f64 v[48:49], v[66:67], s[50:51]
	v_fma_f64 v[20:21], s[4:5], v[190:191], v[14:15]
	v_add_f64 v[22:23], v[22:23], v[28:29]
	v_mul_f64 v[46:47], v[140:141], s[48:49]
	v_fma_f64 v[50:51], v[60:61], s[24:25], -v[48:49]
	v_fma_f64 v[42:43], v[62:63], s[24:25], -v[42:43]
	v_add_f64 v[20:21], v[20:21], v[22:23]
	v_mul_f64 v[44:45], v[148:149], s[18:19]
	v_fma_f64 v[22:23], v[64:65], s[34:35], -v[46:47]
	v_add_f64 v[50:51], v[0:1], v[50:51]
	v_fma_f64 v[38:39], v[138:139], s[34:35], -v[38:39]
	v_add_f64 v[42:43], v[2:3], v[42:43]
	v_mul_f64 v[40:41], v[160:161], s[56:57]
	v_add_f64 v[22:23], v[22:23], v[50:51]
	v_fma_f64 v[50:51], v[136:137], s[12:13], -v[44:45]
	v_fma_f64 v[34:35], v[144:145], s[12:13], -v[34:35]
	v_add_f64 v[38:39], v[38:39], v[42:43]
	v_mul_f64 v[36:37], v[174:175], s[40:41]
	v_add_f64 v[22:23], v[50:51], v[22:23]
	v_fma_f64 v[50:51], v[146:147], s[16:17], -v[40:41]
	;; [unrolled: 5-line block ×5, first 2 shown]
	v_fma_f64 v[14:15], v[190:191], s[4:5], -v[14:15]
	v_add_f64 v[24:25], v[24:25], v[26:27]
	v_add_f64 v[50:51], v[50:51], v[22:23]
	v_fma_f64 v[22:23], s[30:31], v[200:201], v[12:13]
	v_fma_f64 v[12:13], v[200:201], s[30:31], -v[12:13]
	v_add_f64 v[14:15], v[14:15], v[24:25]
	v_fmac_f64_e32 v[48:49], s[24:25], v[60:61]
	v_mul_f64 v[142:143], v[206:207], s[2:3]
	v_add_f64 v[26:27], v[12:13], v[14:15]
	v_fmac_f64_e32 v[46:47], s[34:35], v[64:65]
	v_add_f64 v[12:13], v[0:1], v[48:49]
	v_add_f64 v[18:19], v[22:23], v[20:21]
	v_fma_f64 v[20:21], v[192:193], s[30:31], -v[142:143]
	v_fmac_f64_e32 v[44:45], s[12:13], v[136:137]
	v_add_f64 v[12:13], v[46:47], v[12:13]
	v_mul_f64 v[48:49], v[134:135], s[22:23]
	v_add_f64 v[16:17], v[20:21], v[50:51]
	v_fmac_f64_e32 v[40:41], s[16:17], v[146:147]
	v_add_f64 v[12:13], v[44:45], v[12:13]
	v_mul_f64 v[44:45], v[150:151], s[46:47]
	v_fma_f64 v[50:51], s[16:17], v[62:63], v[48:49]
	v_fmac_f64_e32 v[36:37], s[36:37], v[156:157]
	v_add_f64 v[12:13], v[40:41], v[12:13]
	v_mul_f64 v[40:41], v[158:159], s[40:41]
	v_fma_f64 v[46:47], s[30:31], v[138:139], v[44:45]
	v_add_f64 v[50:51], v[2:3], v[50:51]
	v_fmac_f64_e32 v[32:33], s[20:21], v[168:169]
	v_add_f64 v[12:13], v[36:37], v[12:13]
	v_mul_f64 v[36:37], v[172:173], s[50:51]
	v_fma_f64 v[42:43], s[36:37], v[144:145], v[40:41]
	v_add_f64 v[46:47], v[46:47], v[50:51]
	;; [unrolled: 5-line block ×4, first 2 shown]
	v_add_f64 v[24:25], v[142:143], v[12:13]
	v_mul_f64 v[12:13], v[208:209], s[28:29]
	v_fma_f64 v[28:29], s[4:5], v[180:181], v[32:33]
	v_add_f64 v[30:31], v[30:31], v[38:39]
	v_mul_f64 v[50:51], v[66:67], s[22:23]
	v_fma_f64 v[14:15], s[20:21], v[190:191], v[12:13]
	v_add_f64 v[28:29], v[28:29], v[30:31]
	v_mul_f64 v[46:47], v[140:141], s[46:47]
	v_fma_f64 v[30:31], v[60:61], s[16:17], -v[50:51]
	v_add_f64 v[14:15], v[14:15], v[28:29]
	v_mul_f64 v[42:43], v[148:149], s[40:41]
	v_fma_f64 v[28:29], v[64:65], s[30:31], -v[46:47]
	v_add_f64 v[30:31], v[0:1], v[30:31]
	v_mul_f64 v[38:39], v[160:161], s[50:51]
	v_add_f64 v[28:29], v[28:29], v[30:31]
	v_fma_f64 v[30:31], v[136:137], s[36:37], -v[42:43]
	v_add_f64 v[28:29], v[30:31], v[28:29]
	v_fma_f64 v[30:31], v[146:147], s[24:25], -v[38:39]
	v_mul_f64 v[142:143], v[174:175], s[58:59]
	v_accvgpr_write_b32 a6, v162
	v_add_f64 v[28:29], v[30:31], v[28:29]
	v_fma_f64 v[30:31], v[156:157], s[12:13], -v[142:143]
	v_mul_f64 v[152:153], v[184:185], s[14:15]
	v_accvgpr_write_b32 a7, v163
	v_accvgpr_write_b32 a8, v164
	;; [unrolled: 1-line block ×3, first 2 shown]
	v_add_f64 v[28:29], v[30:31], v[28:29]
	v_fma_f64 v[30:31], v[168:169], s[4:5], -v[152:153]
	v_mul_f64 v[162:163], v[198:199], s[28:29]
	v_add_f64 v[28:29], v[30:31], v[28:29]
	v_fma_f64 v[30:31], v[182:183], s[20:21], -v[162:163]
	v_mul_f64 v[164:165], v[214:215], s[48:49]
	v_add_f64 v[28:29], v[30:31], v[28:29]
	v_fma_f64 v[30:31], s[34:35], v[200:201], v[164:165]
	v_accvgpr_write_b32 a14, v16
	v_add_f64 v[30:31], v[30:31], v[14:15]
	v_mul_f64 v[14:15], v[206:207], s[48:49]
	v_accvgpr_write_b32 a15, v17
	v_accvgpr_write_b32 a16, v18
	;; [unrolled: 1-line block ×3, first 2 shown]
	v_fma_f64 v[16:17], v[192:193], s[34:35], -v[14:15]
	v_fma_f64 v[18:19], v[62:63], s[16:17], -v[48:49]
	v_add_f64 v[28:29], v[16:17], v[28:29]
	v_fma_f64 v[16:17], v[138:139], s[30:31], -v[44:45]
	v_add_f64 v[18:19], v[2:3], v[18:19]
	v_add_f64 v[16:17], v[16:17], v[18:19]
	v_fma_f64 v[18:19], v[144:145], s[36:37], -v[40:41]
	v_add_f64 v[16:17], v[18:19], v[16:17]
	v_fma_f64 v[18:19], v[154:155], s[24:25], -v[36:37]
	;; [unrolled: 2-line block ×4, first 2 shown]
	v_fma_f64 v[12:13], v[190:191], s[20:21], -v[12:13]
	v_add_f64 v[16:17], v[32:33], v[16:17]
	v_fma_f64 v[18:19], v[200:201], s[34:35], -v[164:165]
	v_add_f64 v[12:13], v[12:13], v[16:17]
	v_fmac_f64_e32 v[50:51], s[16:17], v[60:61]
	v_add_f64 v[34:35], v[18:19], v[12:13]
	v_fmac_f64_e32 v[46:47], s[30:31], v[64:65]
	;; [unrolled: 2-line block ×4, first 2 shown]
	v_add_f64 v[12:13], v[42:43], v[12:13]
	v_mul_f64 v[46:47], v[134:135], s[2:3]
	v_add_f64 v[12:13], v[38:39], v[12:13]
	v_mul_f64 v[44:45], v[150:151], s[42:43]
	v_fma_f64 v[38:39], s[30:31], v[62:63], v[46:47]
	v_fmac_f64_e32 v[142:143], s[12:13], v[156:157]
	v_mul_f64 v[42:43], v[158:159], s[54:55]
	v_fma_f64 v[36:37], s[24:25], v[138:139], v[44:45]
	v_add_f64 v[38:39], v[2:3], v[38:39]
	v_fmac_f64_e32 v[152:153], s[4:5], v[168:169]
	v_add_f64 v[12:13], v[142:143], v[12:13]
	v_mul_f64 v[40:41], v[172:173], s[38:39]
	v_add_f64 v[36:37], v[36:37], v[38:39]
	v_fma_f64 v[38:39], s[4:5], v[144:145], v[42:43]
	v_fmac_f64_e32 v[162:163], s[20:21], v[182:183]
	v_add_f64 v[12:13], v[152:153], v[12:13]
	v_mul_f64 v[18:19], v[188:189], s[28:29]
	v_add_f64 v[36:37], v[38:39], v[36:37]
	v_fma_f64 v[38:39], s[34:35], v[154:155], v[40:41]
	;; [unrolled: 5-line block ×3, first 2 shown]
	v_add_f64 v[32:33], v[14:15], v[12:13]
	v_mul_f64 v[12:13], v[208:209], s[40:41]
	v_add_f64 v[36:37], v[38:39], v[36:37]
	v_fma_f64 v[38:39], s[12:13], v[180:181], v[16:17]
	v_fma_f64 v[14:15], s[36:37], v[190:191], v[12:13]
	v_add_f64 v[36:37], v[38:39], v[36:37]
	v_mul_f64 v[48:49], v[66:67], s[2:3]
	v_add_f64 v[14:15], v[14:15], v[36:37]
	v_fma_f64 v[36:37], v[60:61], s[30:31], -v[48:49]
	v_mul_f64 v[50:51], v[140:141], s[42:43]
	v_add_f64 v[36:37], v[0:1], v[36:37]
	v_fma_f64 v[38:39], v[64:65], s[24:25], -v[50:51]
	;; [unrolled: 3-line block ×7, first 2 shown]
	v_accvgpr_write_b32 a0, v176
	v_accvgpr_write_b32 a1, v177
	v_mul_f64 v[176:177], v[214:215], s[22:23]
	v_add_f64 v[36:37], v[38:39], v[36:37]
	v_fma_f64 v[38:39], s[16:17], v[200:201], v[176:177]
	v_add_f64 v[38:39], v[38:39], v[14:15]
	v_mul_f64 v[14:15], v[206:207], s[22:23]
	v_fma_f64 v[20:21], v[192:193], s[16:17], -v[14:15]
	v_fma_f64 v[22:23], v[62:63], s[30:31], -v[46:47]
	v_add_f64 v[36:37], v[20:21], v[36:37]
	v_fma_f64 v[20:21], v[138:139], s[24:25], -v[44:45]
	v_add_f64 v[22:23], v[2:3], v[22:23]
	v_add_f64 v[20:21], v[20:21], v[22:23]
	v_fma_f64 v[22:23], v[144:145], s[4:5], -v[42:43]
	v_add_f64 v[20:21], v[22:23], v[20:21]
	v_fma_f64 v[22:23], v[154:155], s[34:35], -v[40:41]
	;; [unrolled: 2-line block ×5, first 2 shown]
	v_fmac_f64_e32 v[48:49], s[30:31], v[60:61]
	v_add_f64 v[12:13], v[12:13], v[16:17]
	v_fmac_f64_e32 v[50:51], s[24:25], v[64:65]
	v_add_f64 v[16:17], v[0:1], v[48:49]
	v_add_f64 v[16:17], v[50:51], v[16:17]
	v_fmac_f64_e32 v[142:143], s[4:5], v[136:137]
	v_add_f64 v[16:17], v[142:143], v[16:17]
	v_fma_f64 v[18:19], v[200:201], s[16:17], -v[176:177]
	v_fmac_f64_e32 v[152:153], s[34:35], v[146:147]
	v_add_f64 v[42:43], v[18:19], v[12:13]
	v_fmac_f64_e32 v[162:163], s[20:21], v[156:157]
	v_add_f64 v[12:13], v[152:153], v[16:17]
	;; [unrolled: 2-line block ×4, first 2 shown]
	v_mul_f64 v[20:21], v[134:135], s[18:19]
	v_fmac_f64_e32 v[14:15], s[16:17], v[192:193]
	v_add_f64 v[12:13], v[166:167], v[12:13]
	v_mul_f64 v[16:17], v[150:151], s[28:29]
	v_fma_f64 v[22:23], s[12:13], v[62:63], v[20:21]
	v_add_f64 v[40:41], v[14:15], v[12:13]
	v_mul_f64 v[14:15], v[158:159], s[46:47]
	v_fma_f64 v[18:19], s[20:21], v[138:139], v[16:17]
	v_add_f64 v[22:23], v[2:3], v[22:23]
	v_mul_f64 v[12:13], v[172:173], s[52:53]
	v_add_f64 v[18:19], v[18:19], v[22:23]
	v_fma_f64 v[22:23], s[30:31], v[144:145], v[14:15]
	v_fma_f64 v[20:21], v[62:63], s[12:13], -v[20:21]
	v_add_f64 v[18:19], v[22:23], v[18:19]
	v_fma_f64 v[22:23], s[36:37], v[154:155], v[12:13]
	v_fma_f64 v[16:17], v[138:139], s[20:21], -v[16:17]
	v_add_f64 v[20:21], v[2:3], v[20:21]
	v_add_f64 v[18:19], v[22:23], v[18:19]
	v_mul_f64 v[22:23], v[188:189], s[38:39]
	v_add_f64 v[16:17], v[16:17], v[20:21]
	v_fma_f64 v[14:15], v[144:145], s[30:31], -v[14:15]
	v_fma_f64 v[44:45], s[34:35], v[170:171], v[22:23]
	v_mul_f64 v[48:49], v[196:197], s[50:51]
	v_add_f64 v[14:15], v[14:15], v[16:17]
	v_fma_f64 v[12:13], v[154:155], s[36:37], -v[12:13]
	v_add_f64 v[18:19], v[44:45], v[18:19]
	v_fma_f64 v[44:45], s[24:25], v[180:181], v[48:49]
	v_mul_f64 v[50:51], v[208:209], s[56:57]
	v_add_f64 v[12:13], v[12:13], v[14:15]
	v_fma_f64 v[14:15], v[170:171], s[34:35], -v[22:23]
	v_add_f64 v[18:19], v[44:45], v[18:19]
	;; [unrolled: 5-line block ×3, first 2 shown]
	v_fma_f64 v[44:45], v[60:61], s[12:13], -v[142:143]
	v_mul_f64 v[152:153], v[140:141], s[28:29]
	v_add_f64 v[12:13], v[14:15], v[12:13]
	v_fma_f64 v[14:15], v[190:191], s[16:17], -v[50:51]
	v_fmac_f64_e32 v[142:143], s[12:13], v[60:61]
	v_add_f64 v[44:45], v[0:1], v[44:45]
	v_fma_f64 v[46:47], v[64:65], s[20:21], -v[152:153]
	v_mul_f64 v[162:163], v[148:149], s[46:47]
	v_add_f64 v[12:13], v[14:15], v[12:13]
	v_fmac_f64_e32 v[152:153], s[20:21], v[64:65]
	v_add_f64 v[14:15], v[0:1], v[142:143]
	v_add_f64 v[44:45], v[46:47], v[44:45]
	v_fma_f64 v[46:47], v[136:137], s[30:31], -v[162:163]
	v_mul_f64 v[164:165], v[160:161], s[52:53]
	v_add_f64 v[14:15], v[152:153], v[14:15]
	v_fmac_f64_e32 v[162:163], s[30:31], v[136:137]
	v_add_f64 v[44:45], v[46:47], v[44:45]
	v_fma_f64 v[46:47], v[146:147], s[36:37], -v[164:165]
	v_mul_f64 v[166:167], v[174:175], s[38:39]
	v_add_f64 v[14:15], v[162:163], v[14:15]
	v_mul_f64 v[162:163], v[134:135], s[38:39]
	v_add_f64 v[44:45], v[46:47], v[44:45]
	v_fma_f64 v[46:47], v[156:157], s[34:35], -v[166:167]
	v_mul_f64 v[176:177], v[184:185], s[50:51]
	v_mul_f64 v[152:153], v[150:151], s[22:23]
	v_add_f64 v[162:163], v[234:235], -v[162:163]
	v_add_f64 v[44:45], v[46:47], v[44:45]
	v_fma_f64 v[46:47], v[168:169], s[24:25], -v[176:177]
	v_accvgpr_write_b32 a2, v178
	v_accvgpr_write_b32 a3, v179
	v_mul_f64 v[178:179], v[198:199], s[56:57]
	v_mul_f64 v[142:143], v[158:159], s[44:45]
	v_add_f64 v[152:153], v[238:239], -v[152:153]
	v_add_f64 v[162:163], v[2:3], v[162:163]
	v_add_f64 v[44:45], v[46:47], v[44:45]
	v_fma_f64 v[46:47], v[182:183], s[16:17], -v[178:179]
	v_accvgpr_write_b32 a4, v93
	v_mov_b32_e32 v93, v186
	v_mul_f64 v[186:187], v[214:215], s[54:55]
	v_mul_f64 v[22:23], v[172:173], s[46:47]
	v_add_f64 v[142:143], v[240:241], -v[142:143]
	v_add_f64 v[152:153], v[152:153], v[162:163]
	v_add_f64 v[44:45], v[46:47], v[44:45]
	v_fma_f64 v[46:47], s[4:5], v[200:201], v[186:187]
	v_fmac_f64_e32 v[164:165], s[36:37], v[146:147]
	v_mul_f64 v[20:21], v[188:189], s[54:55]
	v_add_f64 v[22:23], v[244:245], -v[22:23]
	v_add_f64 v[142:143], v[142:143], v[152:153]
	v_add_f64 v[46:47], v[46:47], v[18:19]
	v_mul_f64 v[18:19], v[206:207], s[54:55]
	v_add_f64 v[14:15], v[164:165], v[14:15]
	v_fmac_f64_e32 v[166:167], s[34:35], v[156:157]
	v_add_f64 v[20:21], v[246:247], -v[20:21]
	v_mul_f64 v[162:163], v[60:61], s[34:35]
	v_add_f64 v[22:23], v[22:23], v[142:143]
	v_fma_f64 v[194:195], v[192:193], s[4:5], -v[18:19]
	v_add_f64 v[14:15], v[166:167], v[14:15]
	v_fmac_f64_e32 v[176:177], s[24:25], v[168:169]
	v_add_f64 v[20:21], v[20:21], v[22:23]
	v_mul_f64 v[22:23], v[64:65], s[16:17]
	v_add_f64 v[162:163], v[162:163], v[222:223]
	v_add_f64 v[44:45], v[194:195], v[44:45]
	;; [unrolled: 1-line block ×3, first 2 shown]
	v_fmac_f64_e32 v[178:179], s[16:17], v[182:183]
	v_mul_f64 v[194:195], v[136:137], s[20:21]
	v_add_f64 v[22:23], v[22:23], v[224:225]
	v_add_f64 v[162:163], v[0:1], v[162:163]
	;; [unrolled: 1-line block ×3, first 2 shown]
	v_fma_f64 v[16:17], v[200:201], s[4:5], -v[186:187]
	v_fmac_f64_e32 v[18:19], s[4:5], v[192:193]
	v_mul_f64 v[186:187], v[146:147], s[30:31]
	v_add_f64 v[194:195], v[194:195], v[226:227]
	v_add_f64 v[22:23], v[22:23], v[162:163]
	;; [unrolled: 1-line block ×3, first 2 shown]
	v_mul_f64 v[18:19], v[196:197], s[40:41]
	v_mul_f64 v[178:179], v[156:157], s[4:5]
	v_add_f64 v[186:187], v[186:187], v[228:229]
	v_add_f64 v[22:23], v[194:195], v[22:23]
	;; [unrolled: 1-line block ×3, first 2 shown]
	v_mul_f64 v[16:17], v[208:209], s[18:19]
	v_add_f64 v[18:19], v[248:249], -v[18:19]
	v_mul_f64 v[176:177], v[168:169], s[36:37]
	v_add_f64 v[178:179], v[178:179], v[230:231]
	v_add_f64 v[22:23], v[186:187], v[22:23]
	v_add_f64 v[16:17], v[250:251], -v[16:17]
	v_add_f64 v[18:19], v[18:19], v[20:21]
	v_mul_f64 v[166:167], v[182:183], s[12:13]
	v_add_f64 v[176:177], v[176:177], v[232:233]
	v_add_f64 v[22:23], v[178:179], v[22:23]
	;; [unrolled: 1-line block ×3, first 2 shown]
	v_mul_f64 v[18:19], v[192:193], s[24:25]
	v_add_f64 v[166:167], v[166:167], v[236:237]
	v_add_f64 v[22:23], v[176:177], v[22:23]
	v_add_f64 v[18:19], v[18:19], v[242:243]
	v_mul_f64 v[194:195], v[188:189], s[42:43]
	v_add_f64 v[22:23], v[166:167], v[22:23]
	v_mul_f64 v[166:167], v[208:209], s[48:49]
	v_add_f64 v[222:223], v[18:19], v[22:23]
	v_add_f64 v[18:19], v[216:217], -v[166:167]
	v_add_f64 v[166:167], v[202:203], -v[194:195]
	v_accvgpr_read_b32 v203, a31
	v_mul_f64 v[142:143], v[150:151], s[18:19]
	v_accvgpr_read_b32 v202, a30
	v_add_f64 v[142:143], v[202:203], -v[142:143]
	v_accvgpr_read_b32 v203, a29
	v_mul_f64 v[164:165], v[134:135], s[14:15]
	v_accvgpr_read_b32 v202, a28
	v_mul_f64 v[178:179], v[196:197], s[46:47]
	v_accvgpr_read_b32 v195, a33
	v_add_f64 v[164:165], v[202:203], -v[164:165]
	v_mul_f64 v[226:227], v[158:159], s[22:23]
	v_add_f64 v[22:23], v[210:211], -v[178:179]
	v_accvgpr_read_b32 v179, a35
	v_accvgpr_read_b32 v194, a32
	v_add_f64 v[164:165], v[2:3], v[164:165]
	v_mul_f64 v[230:231], v[172:173], s[28:29]
	v_accvgpr_read_b32 v178, a34
	v_add_f64 v[194:195], v[194:195], -v[226:227]
	v_add_f64 v[142:143], v[142:143], v[164:165]
	v_add_f64 v[178:179], v[178:179], -v[230:231]
	v_add_f64 v[142:143], v[194:195], v[142:143]
	v_add_f64 v[142:143], v[178:179], v[142:143]
	;; [unrolled: 1-line block ×5, first 2 shown]
	v_accvgpr_read_b32 v22, a26
	v_mul_f64 v[162:163], v[156:157], s[24:25]
	v_accvgpr_read_b32 v23, a27
	v_add_f64 v[22:23], v[162:163], v[22:23]
	v_accvgpr_read_b32 v163, a23
	v_mul_f64 v[20:21], v[136:137], s[16:17]
	v_accvgpr_read_b32 v162, a22
	v_add_f64 v[20:21], v[20:21], v[162:163]
	v_accvgpr_read_b32 v163, a19
	v_mul_f64 v[152:153], v[64:65], s[12:13]
	v_accvgpr_read_b32 v162, a18
	v_mul_f64 v[14:15], v[214:215], s[50:51]
	v_add_f64 v[152:153], v[152:153], v[162:163]
	v_accvgpr_read_b32 v163, a21
	v_mul_f64 v[12:13], v[60:61], s[4:5]
	v_add_f64 v[14:15], v[252:253], -v[14:15]
	v_accvgpr_read_b32 v162, a20
	v_add_f64 v[224:225], v[14:15], v[16:17]
	v_mul_f64 v[16:17], v[214:215], s[52:53]
	v_add_f64 v[12:13], v[12:13], v[162:163]
	v_mul_f64 v[186:187], v[168:169], s[30:31]
	v_add_f64 v[16:17], v[220:221], -v[16:17]
	v_accvgpr_read_b32 v143, a25
	v_add_f64 v[12:13], v[0:1], v[12:13]
	v_mul_f64 v[134:135], v[134:135], s[40:41]
	v_mul_f64 v[228:229], v[146:147], s[20:21]
	v_add_f64 v[164:165], v[16:17], v[18:19]
	v_add_f64 v[18:19], v[186:187], v[204:205]
	v_accvgpr_read_b32 v142, a24
	v_add_f64 v[12:13], v[152:153], v[12:13]
	v_mul_f64 v[150:151], v[150:151], s[14:15]
	v_fma_f64 v[186:187], s[36:37], v[62:63], v[134:135]
	v_mul_f64 v[176:177], v[182:183], s[34:35]
	v_add_f64 v[142:143], v[228:229], v[142:143]
	v_add_f64 v[12:13], v[20:21], v[12:13]
	v_mul_f64 v[158:159], v[158:159], s[38:39]
	v_fma_f64 v[178:179], s[4:5], v[138:139], v[150:151]
	v_add_f64 v[186:187], v[2:3], v[186:187]
	v_mul_f64 v[66:67], v[66:67], s[40:41]
	v_add_f64 v[16:17], v[176:177], v[212:213]
	v_add_f64 v[12:13], v[142:143], v[12:13]
	v_mul_f64 v[20:21], v[196:197], s[22:23]
	v_mul_f64 v[166:167], v[172:173], s[18:19]
	v_fma_f64 v[176:177], s[34:35], v[144:145], v[158:159]
	v_add_f64 v[178:179], v[178:179], v[186:187]
	v_mul_f64 v[194:195], v[140:141], s[14:15]
	v_fma_f64 v[196:197], v[60:61], s[36:37], -v[66:67]
	v_add_f64 v[12:13], v[22:23], v[12:13]
	v_mul_f64 v[152:153], v[188:189], s[2:3]
	v_fma_f64 v[172:173], s[12:13], v[154:155], v[166:167]
	v_add_f64 v[176:177], v[176:177], v[178:179]
	v_mul_f64 v[148:149], v[148:149], s[38:39]
	v_fma_f64 v[140:141], v[64:65], s[4:5], -v[194:195]
	v_add_f64 v[196:197], v[0:1], v[196:197]
	v_mul_f64 v[14:15], v[192:193], s[36:37]
	v_add_f64 v[12:13], v[18:19], v[12:13]
	v_fma_f64 v[142:143], s[30:31], v[170:171], v[152:153]
	v_add_f64 v[172:173], v[172:173], v[176:177]
	v_mul_f64 v[160:161], v[160:161], s[18:19]
	v_fma_f64 v[188:189], v[136:137], s[34:35], -v[148:149]
	v_add_f64 v[140:141], v[140:141], v[196:197]
	v_add_f64 v[14:15], v[14:15], v[218:219]
	;; [unrolled: 1-line block ×3, first 2 shown]
	v_mul_f64 v[16:17], v[208:209], s[50:51]
	v_fma_f64 v[22:23], s[16:17], v[180:181], v[20:21]
	v_add_f64 v[142:143], v[142:143], v[172:173]
	v_mul_f64 v[174:175], v[174:175], s[2:3]
	v_fma_f64 v[186:187], v[146:147], s[12:13], -v[160:161]
	v_add_f64 v[140:141], v[188:189], v[140:141]
	v_add_f64 v[162:163], v[14:15], v[12:13]
	v_mul_f64 v[12:13], v[214:215], s[28:29]
	v_fma_f64 v[18:19], s[24:25], v[190:191], v[16:17]
	v_add_f64 v[22:23], v[22:23], v[142:143]
	v_mul_f64 v[176:177], v[184:185], s[22:23]
	v_fma_f64 v[184:185], v[156:157], s[30:31], -v[174:175]
	v_add_f64 v[140:141], v[186:187], v[140:141]
	v_fma_f64 v[14:15], s[20:21], v[200:201], v[12:13]
	v_add_f64 v[18:19], v[18:19], v[22:23]
	v_mul_f64 v[22:23], v[198:199], s[50:51]
	v_fma_f64 v[178:179], v[168:169], s[16:17], -v[176:177]
	v_add_f64 v[140:141], v[184:185], v[140:141]
	v_fma_f64 v[62:63], v[62:63], s[36:37], -v[134:135]
	v_add_f64 v[142:143], v[14:15], v[18:19]
	v_mul_f64 v[14:15], v[206:207], s[28:29]
	v_fma_f64 v[172:173], v[182:183], s[24:25], -v[22:23]
	v_add_f64 v[140:141], v[178:179], v[140:141]
	v_fma_f64 v[138:139], v[138:139], s[4:5], -v[150:151]
	v_add_f64 v[62:63], v[2:3], v[62:63]
	;; [unrolled: 2-line block ×4, first 2 shown]
	v_add_f64 v[140:141], v[18:19], v[140:141]
	v_fma_f64 v[18:19], v[180:181], s[16:17], -v[20:21]
	v_fma_f64 v[20:21], v[170:171], s[30:31], -v[152:153]
	v_fma_f64 v[152:153], v[154:155], s[12:13], -v[166:167]
	v_add_f64 v[62:63], v[144:145], v[62:63]
	v_add_f64 v[62:63], v[152:153], v[62:63]
	;; [unrolled: 1-line block ×3, first 2 shown]
	v_fma_f64 v[16:17], v[190:191], s[24:25], -v[16:17]
	v_add_f64 v[18:19], v[18:19], v[20:21]
	v_fma_f64 v[12:13], v[200:201], s[20:21], -v[12:13]
	v_add_f64 v[16:17], v[16:17], v[18:19]
	v_fmac_f64_e32 v[66:67], s[36:37], v[60:61]
	v_add_f64 v[62:63], v[12:13], v[16:17]
	v_add_f64 v[12:13], v[0:1], v[66:67]
	;; [unrolled: 1-line block ×10, first 2 shown]
	v_fmac_f64_e32 v[194:195], s[4:5], v[64:65]
	v_add_f64 v[2:3], v[2:3], v[118:119]
	v_add_f64 v[0:1], v[0:1], v[70:71]
	v_fmac_f64_e32 v[148:149], s[34:35], v[136:137]
	v_add_f64 v[12:13], v[194:195], v[12:13]
	v_add_f64 v[2:3], v[2:3], v[120:121]
	v_add_f64 v[0:1], v[0:1], v[96:97]
	v_fmac_f64_e32 v[160:161], s[12:13], v[146:147]
	v_add_f64 v[12:13], v[148:149], v[12:13]
	;; [unrolled: 4-line block ×6, first 2 shown]
	v_add_f64 v[2:3], v[2:3], v[130:131]
	v_add_f64 v[0:1], v[0:1], v[106:107]
	v_add_f64 v[60:61], v[14:15], v[12:13]
	v_add_f64 v[2:3], v[2:3], v[132:133]
	v_add_f64 v[0:1], v[0:1], v[108:109]
	v_lshrrev_b32_e32 v12, 1, v88
	v_add_f64 v[2:3], v[2:3], v[52:53]
	v_add_f64 v[0:1], v[0:1], v[110:111]
	v_mul_u32_u24_e32 v12, 34, v12
	v_add_f64 v[2:3], v[2:3], v[54:55]
	v_add_f64 v[0:1], v[0:1], v[112:113]
	v_or_b32_e32 v12, v12, v93
	v_add_f64 v[2:3], v[2:3], v[56:57]
	v_add_f64 v[0:1], v[0:1], v[114:115]
	v_lshlrev_b32_e32 v12, 4, v12
	v_accvgpr_read_b32 v179, a3
	v_accvgpr_read_b32 v178, a2
	;; [unrolled: 1-line block ×4, first 2 shown]
	v_add_f64 v[2:3], v[2:3], v[58:59]
	v_add_f64 v[0:1], v[0:1], v[116:117]
	v_accvgpr_read_b32 v93, a4
	v_add3_u32 v12, 0, v12, v254
	ds_write_b128 v12, v[0:3]
	ds_write_b128 v12, v[60:63] offset:32
	ds_write_b128 v12, v[162:165] offset:64
	;; [unrolled: 1-line block ×16, first 2 shown]
.LBB0_26:
	s_or_b64 exec, exec, s[26:27]
	v_lshlrev_b32_e32 v0, 4, v90
	v_add3_u32 v68, 0, v0, v254
	v_lshlrev_b32_e32 v0, 4, v92
	s_waitcnt lgkmcnt(0)
	s_barrier
	ds_read_b128 v[32:35], v255
	ds_read_b128 v[16:19], v89 offset:1088
	ds_read_b128 v[36:39], v89 offset:9248
	;; [unrolled: 1-line block ×7, first 2 shown]
	v_add3_u32 v69, 0, v0, v254
	ds_read_b128 v[24:27], v68
	ds_read_b128 v[12:15], v69
	ds_read_b128 v[60:63], v89 offset:8160
	ds_read_b128 v[0:3], v89 offset:6528
	;; [unrolled: 1-line block ×4, first 2 shown]
	s_and_saveexec_b64 s[2:3], vcc
	s_cbranch_execz .LBB0_28
; %bb.27:
	ds_read_b128 v[8:11], v89 offset:7616
	ds_read_b128 v[4:7], v89 offset:15776
.LBB0_28:
	s_or_b64 exec, exec, s[2:3]
	s_movk_i32 s2, 0xf1
	v_mul_lo_u16_sdwa v70, v177, s2 dst_sel:DWORD dst_unused:UNUSED_PAD src0_sel:BYTE_0 src1_sel:DWORD
	v_subrev_u32_e32 v64, 34, v88
	v_lshrrev_b16_e32 v73, 13, v70
	v_cndmask_b32_e32 v64, v64, v88, vcc
	v_mov_b32_e32 v65, 0
	v_mul_lo_u16_e32 v70, 34, v73
	v_lshl_add_u64 v[66:67], v[64:65], 4, s[8:9]
	v_sub_u16_e32 v71, v177, v70
	v_mov_b32_e32 v70, 4
	v_lshlrev_b32_sdwa v120, v70, v71 dst_sel:DWORD dst_unused:UNUSED_PAD src0_sel:DWORD src1_sel:BYTE_0
	global_load_dwordx4 v[74:77], v[66:67], off offset:512
	global_load_dwordx4 v[78:81], v120, s[8:9] offset:512
	v_mul_lo_u16_sdwa v66, v91, s2 dst_sel:DWORD dst_unused:UNUSED_PAD src0_sel:BYTE_0 src1_sel:DWORD
	v_lshrrev_b16_e32 v67, 13, v66
	s_mov_b32 s4, 0xf0f1
	v_mul_lo_u16_e32 v66, 34, v67
	v_mul_u32_u24_sdwa v72, v93, s4 dst_sel:DWORD dst_unused:UNUSED_PAD src0_sel:WORD_0 src1_sel:DWORD
	v_sub_u16_e32 v66, v91, v66
	v_lshrrev_b32_e32 v122, 21, v72
	v_lshlrev_b32_sdwa v121, v70, v66 dst_sel:DWORD dst_unused:UNUSED_PAD src0_sel:DWORD src1_sel:BYTE_0
	v_mul_lo_u16_e32 v66, 34, v122
	v_mul_u32_u24_sdwa v71, v90, s4 dst_sel:DWORD dst_unused:UNUSED_PAD src0_sel:WORD_0 src1_sel:DWORD
	v_sub_u16_e32 v66, v93, v66
	v_lshrrev_b32_e32 v124, 21, v71
	v_lshlrev_b32_e32 v123, 4, v66
	v_mul_lo_u16_e32 v66, 34, v124
	v_sub_u16_e32 v66, v90, v66
	v_lshlrev_b32_e32 v125, 4, v66
	v_mul_u32_u24_sdwa v66, v92, s4 dst_sel:DWORD dst_unused:UNUSED_PAD src0_sel:WORD_0 src1_sel:DWORD
	v_lshrrev_b32_e32 v126, 21, v66
	global_load_dwordx4 v[94:97], v121, s[8:9] offset:512
	global_load_dwordx4 v[98:101], v123, s[8:9] offset:512
	v_mul_lo_u16_e32 v66, 34, v126
	v_sub_u16_e32 v66, v92, v66
	v_lshlrev_b32_e32 v92, 4, v66
	v_mul_u32_u24_sdwa v66, v179, s4 dst_sel:DWORD dst_unused:UNUSED_PAD src0_sel:WORD_0 src1_sel:DWORD
	v_lshrrev_b32_e32 v127, 21, v66
	v_mul_lo_u16_e32 v66, 34, v127
	v_sub_u16_e32 v66, v179, v66
	global_load_dwordx4 v[102:105], v125, s[8:9] offset:512
	global_load_dwordx4 v[106:109], v92, s[8:9] offset:512
	v_lshlrev_b32_e32 v128, 4, v66
	global_load_dwordx4 v[110:113], v128, s[8:9] offset:512
	v_cmp_lt_u32_e64 s[2:3], 33, v88
	v_lshlrev_b32_e32 v64, 4, v64
	s_movk_i32 s5, 0x440
	s_waitcnt lgkmcnt(0)
	s_barrier
	v_lshlrev_b32_e32 v66, 1, v88
	s_waitcnt vmcnt(6)
	v_mul_f64 v[82:83], v[62:63], v[76:77]
	v_mul_f64 v[76:77], v[60:61], v[76:77]
	v_fmac_f64_e32 v[82:83], v[60:61], v[74:75]
	v_fma_f64 v[62:63], v[62:63], v[74:75], -v[76:77]
	s_waitcnt vmcnt(5)
	v_mul_f64 v[74:75], v[38:39], v[80:81]
	v_fmac_f64_e32 v[74:75], v[36:37], v[78:79]
	v_mul_f64 v[76:77], v[36:37], v[80:81]
	v_add_f64 v[36:37], v[16:17], -v[74:75]
	v_mov_b32_e32 v74, 0x440
	v_cndmask_b32_e64 v74, 0, v74, s[2:3]
	v_add_f64 v[60:61], v[32:33], -v[82:83]
	v_add_f64 v[62:63], v[34:35], -v[62:63]
	v_add_u32_e32 v74, 0, v74
	v_fma_f64 v[32:33], v[32:33], 2.0, -v[60:61]
	v_fma_f64 v[34:35], v[34:35], 2.0, -v[62:63]
	v_fma_f64 v[38:39], v[38:39], v[78:79], -v[76:77]
	v_add3_u32 v64, v74, v64, v254
	v_add_f64 v[38:39], v[18:19], -v[38:39]
	ds_write_b128 v64, v[32:35]
	ds_write_b128 v64, v[60:63] offset:544
	s_waitcnt vmcnt(4)
	v_mul_f64 v[80:81], v[42:43], v[96:97]
	v_mul_f64 v[82:83], v[40:41], v[96:97]
	v_mad_u32_u24 v32, v73, s5, 0
	v_fmac_f64_e32 v[80:81], v[40:41], v[94:95]
	v_fma_f64 v[42:43], v[42:43], v[94:95], -v[82:83]
	v_fma_f64 v[16:17], v[16:17], 2.0, -v[36:37]
	v_fma_f64 v[18:19], v[18:19], 2.0, -v[38:39]
	v_add3_u32 v32, v32, v120, v254
	s_waitcnt vmcnt(3)
	v_mul_f64 v[96:97], v[46:47], v[100:101]
	v_mul_f64 v[100:101], v[44:45], v[100:101]
	v_add_f64 v[40:41], v[28:29], -v[80:81]
	v_add_f64 v[42:43], v[30:31], -v[42:43]
	ds_write_b128 v32, v[16:19]
	ds_write_b128 v32, v[36:39] offset:544
	v_mad_u32_u24 v16, v67, s5, 0
	v_fmac_f64_e32 v[96:97], v[44:45], v[98:99]
	v_fma_f64 v[46:47], v[46:47], v[98:99], -v[100:101]
	v_fma_f64 v[28:29], v[28:29], 2.0, -v[40:41]
	v_fma_f64 v[30:31], v[30:31], 2.0, -v[42:43]
	v_add3_u32 v16, v16, v121, v254
	v_add_f64 v[44:45], v[20:21], -v[96:97]
	v_add_f64 v[46:47], v[22:23], -v[46:47]
	ds_write_b128 v16, v[28:31]
	ds_write_b128 v16, v[40:43] offset:544
	v_mad_u32_u24 v16, v122, s5, 0
	v_fma_f64 v[20:21], v[20:21], 2.0, -v[44:45]
	v_fma_f64 v[22:23], v[22:23], 2.0, -v[46:47]
	v_add3_u32 v16, v16, v123, v254
	s_mov_b32 s2, 0x5040100
	ds_write_b128 v16, v[20:23]
	ds_write_b128 v16, v[44:47] offset:544
	v_perm_b32 v16, v126, v124, s2
	s_waitcnt vmcnt(2)
	v_mul_f64 v[114:115], v[50:51], v[104:105]
	v_mul_f64 v[104:105], v[48:49], v[104:105]
	s_waitcnt vmcnt(1)
	v_mul_f64 v[116:117], v[58:59], v[108:109]
	v_mul_f64 v[108:109], v[56:57], v[108:109]
	v_pk_mul_lo_u16 v16, v16, s5 op_sel_hi:[1,0]
	s_waitcnt vmcnt(0)
	v_mul_f64 v[118:119], v[54:55], v[112:113]
	v_mul_f64 v[112:113], v[52:53], v[112:113]
	v_fmac_f64_e32 v[114:115], v[48:49], v[102:103]
	v_fma_f64 v[50:51], v[50:51], v[102:103], -v[104:105]
	v_fmac_f64_e32 v[116:117], v[56:57], v[106:107]
	v_fma_f64 v[56:57], v[58:59], v[106:107], -v[108:109]
	v_and_b32_e32 v17, 0xffc0, v16
	v_fmac_f64_e32 v[118:119], v[52:53], v[110:111]
	v_fma_f64 v[58:59], v[54:55], v[110:111], -v[112:113]
	v_add_f64 v[48:49], v[24:25], -v[114:115]
	v_add_f64 v[50:51], v[26:27], -v[50:51]
	;; [unrolled: 1-line block ×4, first 2 shown]
	v_add_u32_e32 v17, 0, v17
	v_add_u32_sdwa v16, v65, v16 dst_sel:DWORD dst_unused:UNUSED_PAD src0_sel:DWORD src1_sel:WORD_1
	v_fma_f64 v[24:25], v[24:25], 2.0, -v[48:49]
	v_fma_f64 v[26:27], v[26:27], 2.0, -v[50:51]
	;; [unrolled: 1-line block ×4, first 2 shown]
	v_add3_u32 v17, v17, v125, v254
	v_add3_u32 v16, v16, v92, v254
	v_add_f64 v[56:57], v[0:1], -v[118:119]
	v_add_f64 v[58:59], v[2:3], -v[58:59]
	ds_write_b128 v17, v[24:27]
	ds_write_b128 v17, v[48:51] offset:544
	ds_write_b128 v16, v[12:15]
	ds_write_b128 v16, v[52:55] offset:544
	v_mad_u32_u24 v12, v127, s5, 0
	v_fma_f64 v[0:1], v[0:1], 2.0, -v[56:57]
	v_fma_f64 v[2:3], v[2:3], 2.0, -v[58:59]
	v_add3_u32 v12, v12, v128, v254
	ds_write_b128 v12, v[0:3]
	ds_write_b128 v12, v[56:59] offset:544
	s_and_saveexec_b64 s[2:3], vcc
	s_cbranch_execz .LBB0_30
; %bb.29:
	v_mul_u32_u24_sdwa v0, v178, s4 dst_sel:DWORD dst_unused:UNUSED_PAD src0_sel:WORD_0 src1_sel:DWORD
	v_lshrrev_b32_e32 v0, 21, v0
	v_mul_lo_u16_e32 v0, 34, v0
	v_sub_u16_e32 v0, v178, v0
	v_lshlrev_b32_e32 v12, 4, v0
	global_load_dwordx4 v[0:3], v12, s[8:9] offset:512
	v_add3_u32 v16, 0, v12, v254
	s_waitcnt vmcnt(0)
	v_mul_f64 v[12:13], v[4:5], v[2:3]
	v_mul_f64 v[14:15], v[6:7], v[2:3]
	v_fma_f64 v[2:3], v[6:7], v[0:1], -v[12:13]
	v_fmac_f64_e32 v[14:15], v[4:5], v[0:1]
	v_add_f64 v[2:3], v[10:11], -v[2:3]
	v_add_f64 v[0:1], v[8:9], -v[14:15]
	v_fma_f64 v[6:7], v[10:11], 2.0, -v[2:3]
	v_fma_f64 v[4:5], v[8:9], 2.0, -v[0:1]
	ds_write_b128 v16, v[4:7] offset:15232
	ds_write_b128 v16, v[0:3] offset:15776
.LBB0_30:
	s_or_b64 exec, exec, s[2:3]
	v_mov_b32_e32 v67, v65
	v_lshl_add_u64 v[0:1], v[66:67], 4, s[8:9]
	s_waitcnt lgkmcnt(0)
	s_barrier
	global_load_dwordx4 v[16:19], v[0:1], off offset:1056
	global_load_dwordx4 v[20:23], v[0:1], off offset:1072
	v_lshrrev_b32_e32 v0, 22, v72
	v_mul_lo_u16_e32 v0, 0x44, v0
	v_sub_u16_e32 v64, v93, v0
	v_lshrrev_b32_e32 v1, 22, v71
	v_lshlrev_b32_e32 v0, 5, v64
	s_movk_i32 s2, 0x79
	global_load_dwordx4 v[24:27], v0, s[8:9] offset:1072
	global_load_dwordx4 v[28:31], v0, s[8:9] offset:1056
	v_mul_lo_u16_e32 v0, 0x44, v1
	v_mul_lo_u16_sdwa v1, v91, s2 dst_sel:DWORD dst_unused:UNUSED_PAD src0_sel:BYTE_0 src1_sel:DWORD
	v_sub_u16_e32 v71, v90, v0
	v_lshrrev_b16_e32 v1, 13, v1
	v_lshlrev_b32_e32 v0, 5, v71
	v_mul_lo_u16_e32 v1, 0x44, v1
	global_load_dwordx4 v[32:35], v0, s[8:9] offset:1056
	global_load_dwordx4 v[36:39], v0, s[8:9] offset:1072
	v_mov_b32_e32 v0, 5
	v_sub_u16_e32 v90, v91, v1
	v_lshlrev_b32_sdwa v0, v0, v90 dst_sel:DWORD dst_unused:UNUSED_PAD src0_sel:DWORD src1_sel:BYTE_0
	global_load_dwordx4 v[40:43], v0, s[8:9] offset:1056
	global_load_dwordx4 v[44:47], v0, s[8:9] offset:1072
	ds_read_b128 v[48:51], v69
	ds_read_b128 v[52:55], v255
	ds_read_b128 v[12:15], v89 offset:1088
	ds_read_b128 v[56:59], v89 offset:10880
	;; [unrolled: 1-line block ×11, first 2 shown]
	ds_read_b128 v[0:3], v68
	ds_read_b128 v[104:107], v89 offset:15232
	s_mov_b32 s2, 0xe8584caa
	s_mov_b32 s3, 0xbfebb67a
	;; [unrolled: 1-line block ×4, first 2 shown]
	s_waitcnt lgkmcnt(0)
	s_barrier
	s_mov_b32 s13, 0x3fee6f0e
	s_mov_b32 s15, 0x3fe2cf23
	s_waitcnt vmcnt(7)
	v_mul_f64 v[66:67], v[50:51], v[18:19]
	v_mul_f64 v[108:109], v[48:49], v[18:19]
	s_waitcnt vmcnt(6)
	v_mul_f64 v[110:111], v[58:59], v[22:23]
	v_mul_f64 v[112:113], v[56:57], v[22:23]
	;; [unrolled: 1-line block ×6, first 2 shown]
	v_fmac_f64_e32 v[66:67], v[48:49], v[16:17]
	v_fma_f64 v[48:49], v[50:51], v[16:17], -v[108:109]
	v_fmac_f64_e32 v[110:111], v[56:57], v[20:21]
	v_fma_f64 v[50:51], v[58:59], v[20:21], -v[112:113]
	;; [unrolled: 2-line block ×4, first 2 shown]
	s_waitcnt vmcnt(4)
	v_mul_f64 v[60:61], v[98:99], v[30:31]
	v_mul_f64 v[16:17], v[96:97], v[30:31]
	;; [unrolled: 1-line block ×4, first 2 shown]
	s_waitcnt vmcnt(2)
	v_mul_f64 v[22:23], v[104:105], v[38:39]
	v_mul_f64 v[74:75], v[106:107], v[38:39]
	v_add_f64 v[26:27], v[52:53], v[66:67]
	v_fmac_f64_e32 v[60:61], v[96:97], v[28:29]
	v_fma_f64 v[96:97], v[98:99], v[28:29], -v[16:17]
	v_fmac_f64_e32 v[62:63], v[92:93], v[24:25]
	v_fma_f64 v[92:93], v[94:95], v[24:25], -v[18:19]
	v_fma_f64 v[98:99], v[106:107], v[36:37], -v[22:23]
	s_waitcnt vmcnt(1)
	v_mul_f64 v[38:39], v[78:79], v[42:43]
	v_mul_f64 v[18:19], v[76:77], v[42:43]
	v_add_f64 v[22:23], v[48:49], v[50:51]
	v_mul_f64 v[20:21], v[100:101], v[34:35]
	v_add_f64 v[30:31], v[66:67], v[110:111]
	v_add_f64 v[16:17], v[26:27], v[110:111]
	s_waitcnt vmcnt(0)
	v_mul_f64 v[42:43], v[82:83], v[46:47]
	v_fmac_f64_e32 v[38:39], v[76:77], v[40:41]
	v_fma_f64 v[40:41], v[78:79], v[40:41], -v[18:19]
	v_add_f64 v[18:19], v[54:55], v[48:49]
	v_fmac_f64_e32 v[54:55], -0.5, v[22:23]
	v_add_f64 v[24:25], v[66:67], -v[110:111]
	v_add_f64 v[26:27], v[114:115], v[116:117]
	v_mul_f64 v[72:73], v[102:103], v[34:35]
	v_add_f64 v[34:35], v[48:49], -v[50:51]
	v_fma_f64 v[94:95], v[102:103], v[32:33], -v[20:21]
	v_fmac_f64_e32 v[52:53], -0.5, v[30:31]
	v_mul_f64 v[20:21], v[80:81], v[46:47]
	v_fmac_f64_e32 v[42:43], v[80:81], v[44:45]
	v_fma_f64 v[22:23], s[4:5], v[24:25], v[54:55]
	v_fmac_f64_e32 v[54:55], s[2:3], v[24:25]
	v_add_f64 v[24:25], v[12:13], v[114:115]
	v_fmac_f64_e32 v[12:13], -0.5, v[26:27]
	v_add_f64 v[26:27], v[56:57], -v[58:59]
	v_add_f64 v[30:31], v[56:57], v[58:59]
	v_fmac_f64_e32 v[72:73], v[100:101], v[32:33]
	v_fma_f64 v[44:45], v[82:83], v[44:45], -v[20:21]
	v_fma_f64 v[20:21], s[2:3], v[34:35], v[52:53]
	v_fmac_f64_e32 v[52:53], s[4:5], v[34:35]
	v_fma_f64 v[28:29], s[2:3], v[26:27], v[12:13]
	v_fmac_f64_e32 v[12:13], s[4:5], v[26:27]
	v_add_f64 v[26:27], v[14:15], v[56:57]
	v_fmac_f64_e32 v[14:15], -0.5, v[30:31]
	v_add_f64 v[32:33], v[114:115], -v[116:117]
	v_add_f64 v[34:35], v[38:39], v[42:43]
	v_fma_f64 v[30:31], s[4:5], v[32:33], v[14:15]
	v_fmac_f64_e32 v[14:15], s[2:3], v[32:33]
	v_add_f64 v[32:33], v[8:9], v[38:39]
	v_fmac_f64_e32 v[8:9], -0.5, v[34:35]
	v_add_f64 v[34:35], v[40:41], -v[44:45]
	v_fmac_f64_e32 v[74:75], v[104:105], v[36:37]
	v_add_f64 v[18:19], v[18:19], v[50:51]
	v_fma_f64 v[36:37], s[2:3], v[34:35], v[8:9]
	v_fmac_f64_e32 v[8:9], s[4:5], v[34:35]
	v_add_f64 v[34:35], v[10:11], v[40:41]
	v_add_f64 v[40:41], v[40:41], v[44:45]
	;; [unrolled: 1-line block ×5, first 2 shown]
	v_fmac_f64_e32 v[10:11], -0.5, v[40:41]
	v_add_f64 v[40:41], v[38:39], -v[42:43]
	v_add_f64 v[42:43], v[60:61], v[62:63]
	ds_write_b128 v89, v[16:19]
	ds_write_b128 v89, v[20:23] offset:1088
	ds_write_b128 v89, v[52:55] offset:2176
	;; [unrolled: 1-line block ×5, first 2 shown]
	v_lshlrev_b32_sdwa v12, v70, v90 dst_sel:DWORD dst_unused:UNUSED_PAD src0_sel:DWORD src1_sel:BYTE_0
	v_add_f64 v[34:35], v[34:35], v[44:45]
	v_fma_f64 v[38:39], s[4:5], v[40:41], v[10:11]
	v_fmac_f64_e32 v[10:11], s[2:3], v[40:41]
	v_add_f64 v[40:41], v[4:5], v[60:61]
	v_fmac_f64_e32 v[4:5], -0.5, v[42:43]
	v_add_f64 v[42:43], v[96:97], -v[92:93]
	v_add_f64 v[46:47], v[96:97], v[92:93]
	v_add3_u32 v12, 0, v12, v254
	v_fma_f64 v[44:45], s[2:3], v[42:43], v[4:5]
	v_fmac_f64_e32 v[4:5], s[4:5], v[42:43]
	v_add_f64 v[42:43], v[6:7], v[96:97]
	v_fmac_f64_e32 v[6:7], -0.5, v[46:47]
	v_add_f64 v[48:49], v[60:61], -v[62:63]
	v_add_f64 v[50:51], v[72:73], v[74:75]
	ds_write_b128 v12, v[32:35] offset:6528
	ds_write_b128 v12, v[36:39] offset:7616
	;; [unrolled: 1-line block ×3, first 2 shown]
	v_lshlrev_b32_e32 v8, 4, v64
	v_add_f64 v[40:41], v[40:41], v[62:63]
	v_add_f64 v[42:43], v[42:43], v[92:93]
	v_fma_f64 v[46:47], s[4:5], v[48:49], v[6:7]
	v_fmac_f64_e32 v[6:7], s[2:3], v[48:49]
	v_add_f64 v[48:49], v[0:1], v[72:73]
	v_fmac_f64_e32 v[0:1], -0.5, v[50:51]
	v_add_f64 v[50:51], v[94:95], -v[98:99]
	v_add3_u32 v8, 0, v8, v254
	v_fma_f64 v[56:57], s[2:3], v[50:51], v[0:1]
	v_fmac_f64_e32 v[0:1], s[4:5], v[50:51]
	v_add_f64 v[50:51], v[2:3], v[94:95]
	v_add_f64 v[58:59], v[94:95], v[98:99]
	ds_write_b128 v8, v[40:43] offset:9792
	ds_write_b128 v8, v[44:47] offset:10880
	;; [unrolled: 1-line block ×3, first 2 shown]
	v_lshlrev_b32_e32 v4, 4, v71
	v_add_f64 v[48:49], v[48:49], v[74:75]
	v_add_f64 v[50:51], v[50:51], v[98:99]
	v_fmac_f64_e32 v[2:3], -0.5, v[58:59]
	v_add_f64 v[60:61], v[72:73], -v[74:75]
	v_add3_u32 v4, 0, v4, v254
	v_lshlrev_b32_e32 v64, 2, v88
	v_fma_f64 v[58:59], s[4:5], v[60:61], v[2:3]
	v_fmac_f64_e32 v[2:3], s[2:3], v[60:61]
	ds_write_b128 v4, v[48:51] offset:13056
	ds_write_b128 v4, v[56:59] offset:14144
	;; [unrolled: 1-line block ×3, first 2 shown]
	v_lshl_add_u64 v[0:1], v[64:65], 4, s[8:9]
	s_waitcnt lgkmcnt(0)
	s_barrier
	global_load_dwordx4 v[12:15], v[0:1], off offset:3232
	global_load_dwordx4 v[16:19], v[0:1], off offset:3248
	global_load_dwordx4 v[20:23], v[0:1], off offset:3264
	global_load_dwordx4 v[24:27], v[0:1], off offset:3280
	v_lshlrev_b32_e32 v64, 2, v177
	v_lshl_add_u64 v[0:1], v[64:65], 4, s[8:9]
	global_load_dwordx4 v[28:31], v[0:1], off offset:3232
	global_load_dwordx4 v[32:35], v[0:1], off offset:3248
	;; [unrolled: 1-line block ×4, first 2 shown]
	v_lshlrev_b32_e32 v64, 2, v91
	v_lshl_add_u64 v[0:1], v[64:65], 4, s[8:9]
	global_load_dwordx4 v[44:47], v[0:1], off offset:3232
	global_load_dwordx4 v[48:51], v[0:1], off offset:3248
	;; [unrolled: 1-line block ×4, first 2 shown]
	ds_read_b128 v[8:11], v255
	ds_read_b128 v[4:7], v89 offset:1088
	ds_read_b128 v[60:63], v89 offset:6528
	;; [unrolled: 1-line block ×7, first 2 shown]
	ds_read_b128 v[90:93], v69
	ds_read_b128 v[94:97], v89 offset:9792
	ds_read_b128 v[98:101], v89 offset:8704
	;; [unrolled: 1-line block ×4, first 2 shown]
	ds_read_b128 v[110:113], v68
	ds_read_b128 v[114:117], v89 offset:15232
	s_mov_b32 s4, 0x134454ff
	s_mov_b32 s5, 0xbfee6f0e
	;; [unrolled: 1-line block ×8, first 2 shown]
	s_waitcnt lgkmcnt(0)
	s_barrier
	s_waitcnt vmcnt(11)
	v_mul_f64 v[68:69], v[80:81], v[14:15]
	v_mul_f64 v[14:15], v[78:79], v[14:15]
	v_fmac_f64_e32 v[68:69], v[78:79], v[12:13]
	v_fma_f64 v[78:79], v[80:81], v[12:13], -v[14:15]
	s_waitcnt vmcnt(10)
	v_mul_f64 v[80:81], v[62:63], v[18:19]
	v_mul_f64 v[12:13], v[60:61], v[18:19]
	v_fmac_f64_e32 v[80:81], v[60:61], v[16:17]
	v_fma_f64 v[60:61], v[62:63], v[16:17], -v[12:13]
	s_waitcnt vmcnt(9)
	v_mul_f64 v[12:13], v[94:95], v[22:23]
	v_mul_f64 v[62:63], v[96:97], v[22:23]
	v_fma_f64 v[82:83], v[96:97], v[20:21], -v[12:13]
	s_waitcnt vmcnt(8)
	v_mul_f64 v[22:23], v[72:73], v[26:27]
	v_mul_f64 v[12:13], v[70:71], v[26:27]
	v_fmac_f64_e32 v[22:23], v[70:71], v[24:25]
	v_fma_f64 v[70:71], v[72:73], v[24:25], -v[12:13]
	s_waitcnt vmcnt(7)
	v_mul_f64 v[12:13], v[110:111], v[30:31]
	v_fmac_f64_e32 v[62:63], v[94:95], v[20:21]
	v_fma_f64 v[94:95], v[112:113], v[28:29], -v[12:13]
	s_waitcnt vmcnt(6)
	v_mul_f64 v[96:97], v[66:67], v[34:35]
	v_mul_f64 v[12:13], v[64:65], v[34:35]
	v_fmac_f64_e32 v[96:97], v[64:65], v[32:33]
	v_fma_f64 v[64:65], v[66:67], v[32:33], -v[12:13]
	s_waitcnt vmcnt(5)
	v_mul_f64 v[66:67], v[104:105], v[38:39]
	;; [unrolled: 5-line block ×3, first 2 shown]
	v_mul_f64 v[12:13], v[74:75], v[42:43]
	v_mul_f64 v[72:73], v[112:113], v[30:31]
	v_fmac_f64_e32 v[104:105], v[74:75], v[40:41]
	v_fma_f64 v[74:75], v[76:77], v[40:41], -v[12:13]
	s_waitcnt vmcnt(3)
	v_mul_f64 v[12:13], v[90:91], v[46:47]
	v_fmac_f64_e32 v[72:73], v[110:111], v[28:29]
	v_fma_f64 v[28:29], v[92:93], v[44:45], -v[12:13]
	s_waitcnt vmcnt(2)
	v_mul_f64 v[12:13], v[98:99], v[50:51]
	v_fma_f64 v[30:31], v[100:101], v[48:49], -v[12:13]
	s_waitcnt vmcnt(1)
	v_mul_f64 v[12:13], v[106:107], v[54:55]
	;; [unrolled: 3-line block ×3, first 2 shown]
	v_fma_f64 v[34:35], v[116:117], v[56:57], -v[12:13]
	v_add_f64 v[12:13], v[8:9], v[68:69]
	v_add_f64 v[12:13], v[12:13], v[80:81]
	;; [unrolled: 1-line block ×5, first 2 shown]
	v_fma_f64 v[12:13], -0.5, v[12:13], v[8:9]
	v_add_f64 v[14:15], v[78:79], -v[70:71]
	v_fma_f64 v[20:21], s[4:5], v[14:15], v[12:13]
	v_add_f64 v[18:19], v[60:61], -v[82:83]
	v_add_f64 v[24:25], v[68:69], -v[80:81]
	;; [unrolled: 1-line block ×3, first 2 shown]
	v_fmac_f64_e32 v[12:13], s[12:13], v[14:15]
	v_fmac_f64_e32 v[20:21], s[2:3], v[18:19]
	v_add_f64 v[24:25], v[24:25], v[26:27]
	v_fmac_f64_e32 v[12:13], s[14:15], v[18:19]
	v_fmac_f64_e32 v[20:21], s[8:9], v[24:25]
	;; [unrolled: 1-line block ×3, first 2 shown]
	v_add_f64 v[24:25], v[68:69], v[22:23]
	v_fmac_f64_e32 v[8:9], -0.5, v[24:25]
	v_fma_f64 v[24:25], s[12:13], v[18:19], v[8:9]
	v_fmac_f64_e32 v[8:9], s[4:5], v[18:19]
	v_fmac_f64_e32 v[24:25], s[2:3], v[14:15]
	v_fmac_f64_e32 v[8:9], s[14:15], v[14:15]
	v_add_f64 v[14:15], v[10:11], v[78:79]
	v_add_f64 v[14:15], v[14:15], v[60:61]
	v_mul_f64 v[36:37], v[92:93], v[46:47]
	v_add_f64 v[14:15], v[14:15], v[82:83]
	v_fmac_f64_e32 v[36:37], v[90:91], v[44:45]
	v_add_f64 v[26:27], v[80:81], -v[68:69]
	v_add_f64 v[44:45], v[62:63], -v[22:23]
	v_add_f64 v[18:19], v[14:15], v[70:71]
	v_add_f64 v[14:15], v[60:61], v[82:83]
	v_mul_f64 v[38:39], v[100:101], v[50:51]
	v_add_f64 v[26:27], v[26:27], v[44:45]
	v_fma_f64 v[14:15], -0.5, v[14:15], v[10:11]
	v_add_f64 v[44:45], v[68:69], -v[22:23]
	v_fmac_f64_e32 v[38:39], v[98:99], v[48:49]
	v_fmac_f64_e32 v[24:25], s[8:9], v[26:27]
	;; [unrolled: 1-line block ×3, first 2 shown]
	v_fma_f64 v[22:23], s[12:13], v[44:45], v[14:15]
	v_add_f64 v[46:47], v[80:81], -v[62:63]
	v_add_f64 v[26:27], v[78:79], -v[60:61]
	;; [unrolled: 1-line block ×3, first 2 shown]
	v_fmac_f64_e32 v[14:15], s[4:5], v[44:45]
	v_fmac_f64_e32 v[22:23], s[14:15], v[46:47]
	v_add_f64 v[26:27], v[26:27], v[48:49]
	v_fmac_f64_e32 v[14:15], s[2:3], v[46:47]
	v_fmac_f64_e32 v[22:23], s[8:9], v[26:27]
	;; [unrolled: 1-line block ×3, first 2 shown]
	v_add_f64 v[26:27], v[78:79], v[70:71]
	v_fmac_f64_e32 v[10:11], -0.5, v[26:27]
	v_fma_f64 v[26:27], s[4:5], v[46:47], v[10:11]
	v_add_f64 v[48:49], v[60:61], -v[78:79]
	v_add_f64 v[50:51], v[82:83], -v[70:71]
	v_fmac_f64_e32 v[10:11], s[12:13], v[46:47]
	v_fmac_f64_e32 v[26:27], s[14:15], v[44:45]
	v_add_f64 v[48:49], v[48:49], v[50:51]
	v_fmac_f64_e32 v[10:11], s[2:3], v[44:45]
	v_add_f64 v[46:47], v[96:97], v[66:67]
	v_mul_f64 v[40:41], v[108:109], v[54:55]
	v_mul_f64 v[42:43], v[116:117], v[58:59]
	v_fmac_f64_e32 v[26:27], s[8:9], v[48:49]
	v_fmac_f64_e32 v[10:11], s[8:9], v[48:49]
	v_fma_f64 v[48:49], -0.5, v[46:47], v[4:5]
	v_add_f64 v[46:47], v[94:95], -v[74:75]
	v_fmac_f64_e32 v[40:41], v[106:107], v[52:53]
	v_fmac_f64_e32 v[42:43], v[114:115], v[56:57]
	v_fma_f64 v[52:53], s[4:5], v[46:47], v[48:49]
	v_add_f64 v[50:51], v[64:65], -v[102:103]
	v_add_f64 v[54:55], v[72:73], -v[96:97]
	;; [unrolled: 1-line block ×3, first 2 shown]
	v_fmac_f64_e32 v[48:49], s[12:13], v[46:47]
	v_fmac_f64_e32 v[52:53], s[2:3], v[50:51]
	v_add_f64 v[54:55], v[54:55], v[56:57]
	v_fmac_f64_e32 v[48:49], s[14:15], v[50:51]
	v_fmac_f64_e32 v[52:53], s[8:9], v[54:55]
	;; [unrolled: 1-line block ×3, first 2 shown]
	v_add_f64 v[54:55], v[72:73], v[104:105]
	v_add_f64 v[44:45], v[4:5], v[72:73]
	v_fmac_f64_e32 v[4:5], -0.5, v[54:55]
	v_fma_f64 v[56:57], s[12:13], v[50:51], v[4:5]
	v_add_f64 v[54:55], v[96:97], -v[72:73]
	v_add_f64 v[58:59], v[66:67], -v[104:105]
	v_fmac_f64_e32 v[4:5], s[4:5], v[50:51]
	v_add_f64 v[50:51], v[64:65], v[102:103]
	v_add_f64 v[44:45], v[44:45], v[96:97]
	v_fmac_f64_e32 v[56:57], s[2:3], v[46:47]
	v_add_f64 v[54:55], v[54:55], v[58:59]
	v_fmac_f64_e32 v[4:5], s[14:15], v[46:47]
	v_fma_f64 v[50:51], -0.5, v[50:51], v[6:7]
	v_add_f64 v[60:61], v[72:73], -v[104:105]
	v_add_f64 v[44:45], v[44:45], v[66:67]
	v_fmac_f64_e32 v[56:57], s[8:9], v[54:55]
	v_fmac_f64_e32 v[4:5], s[8:9], v[54:55]
	v_fma_f64 v[54:55], s[12:13], v[60:61], v[50:51]
	v_add_f64 v[62:63], v[96:97], -v[66:67]
	v_add_f64 v[58:59], v[94:95], -v[64:65]
	;; [unrolled: 1-line block ×3, first 2 shown]
	v_fmac_f64_e32 v[50:51], s[4:5], v[60:61]
	v_fmac_f64_e32 v[54:55], s[14:15], v[62:63]
	v_add_f64 v[58:59], v[58:59], v[66:67]
	v_fmac_f64_e32 v[50:51], s[2:3], v[62:63]
	v_fmac_f64_e32 v[54:55], s[8:9], v[58:59]
	v_fmac_f64_e32 v[50:51], s[8:9], v[58:59]
	v_add_f64 v[58:59], v[94:95], v[74:75]
	v_add_f64 v[46:47], v[6:7], v[94:95]
	v_fmac_f64_e32 v[6:7], -0.5, v[58:59]
	v_add_f64 v[46:47], v[46:47], v[64:65]
	v_fma_f64 v[58:59], s[4:5], v[62:63], v[6:7]
	v_add_f64 v[64:65], v[64:65], -v[94:95]
	v_add_f64 v[66:67], v[102:103], -v[74:75]
	v_fmac_f64_e32 v[6:7], s[12:13], v[62:63]
	v_fmac_f64_e32 v[58:59], s[14:15], v[60:61]
	v_add_f64 v[64:65], v[64:65], v[66:67]
	v_fmac_f64_e32 v[6:7], s[2:3], v[60:61]
	v_add_f64 v[62:63], v[38:39], v[40:41]
	v_fmac_f64_e32 v[58:59], s[8:9], v[64:65]
	v_fmac_f64_e32 v[6:7], s[8:9], v[64:65]
	v_fma_f64 v[64:65], -0.5, v[62:63], v[0:1]
	v_add_f64 v[62:63], v[28:29], -v[34:35]
	v_fma_f64 v[68:69], s[4:5], v[62:63], v[64:65]
	v_add_f64 v[66:67], v[30:31], -v[32:33]
	v_add_f64 v[70:71], v[36:37], -v[38:39]
	;; [unrolled: 1-line block ×3, first 2 shown]
	v_fmac_f64_e32 v[64:65], s[12:13], v[62:63]
	v_fmac_f64_e32 v[68:69], s[2:3], v[66:67]
	v_add_f64 v[70:71], v[70:71], v[72:73]
	v_fmac_f64_e32 v[64:65], s[14:15], v[66:67]
	v_fmac_f64_e32 v[68:69], s[8:9], v[70:71]
	;; [unrolled: 1-line block ×3, first 2 shown]
	v_add_f64 v[70:71], v[36:37], v[42:43]
	v_add_f64 v[46:47], v[46:47], v[102:103]
	;; [unrolled: 1-line block ×3, first 2 shown]
	v_fmac_f64_e32 v[0:1], -0.5, v[70:71]
	v_add_f64 v[46:47], v[46:47], v[74:75]
	v_add_f64 v[60:61], v[60:61], v[38:39]
	v_fma_f64 v[72:73], s[12:13], v[66:67], v[0:1]
	v_add_f64 v[70:71], v[38:39], -v[36:37]
	v_add_f64 v[74:75], v[40:41], -v[42:43]
	v_fmac_f64_e32 v[0:1], s[4:5], v[66:67]
	v_add_f64 v[66:67], v[30:31], v[32:33]
	v_add_f64 v[60:61], v[60:61], v[40:41]
	v_fmac_f64_e32 v[72:73], s[2:3], v[62:63]
	v_add_f64 v[70:71], v[70:71], v[74:75]
	v_fmac_f64_e32 v[0:1], s[14:15], v[62:63]
	v_fma_f64 v[66:67], -0.5, v[66:67], v[2:3]
	v_add_f64 v[36:37], v[36:37], -v[42:43]
	v_add_f64 v[60:61], v[60:61], v[42:43]
	v_fmac_f64_e32 v[72:73], s[8:9], v[70:71]
	v_fmac_f64_e32 v[0:1], s[8:9], v[70:71]
	v_fma_f64 v[70:71], s[12:13], v[36:37], v[66:67]
	v_add_f64 v[38:39], v[38:39], -v[40:41]
	v_add_f64 v[40:41], v[28:29], -v[30:31]
	;; [unrolled: 1-line block ×3, first 2 shown]
	v_fmac_f64_e32 v[66:67], s[4:5], v[36:37]
	v_fmac_f64_e32 v[70:71], s[14:15], v[38:39]
	v_add_f64 v[40:41], v[40:41], v[42:43]
	v_fmac_f64_e32 v[66:67], s[2:3], v[38:39]
	v_fmac_f64_e32 v[70:71], s[8:9], v[40:41]
	;; [unrolled: 1-line block ×3, first 2 shown]
	v_add_f64 v[40:41], v[28:29], v[34:35]
	v_add_f64 v[62:63], v[2:3], v[28:29]
	v_fmac_f64_e32 v[2:3], -0.5, v[40:41]
	v_add_f64 v[62:63], v[62:63], v[30:31]
	v_fma_f64 v[74:75], s[4:5], v[38:39], v[2:3]
	v_add_f64 v[28:29], v[30:31], -v[28:29]
	v_add_f64 v[30:31], v[32:33], -v[34:35]
	v_fmac_f64_e32 v[2:3], s[12:13], v[38:39]
	v_add_f64 v[62:63], v[62:63], v[32:33]
	v_fmac_f64_e32 v[74:75], s[14:15], v[36:37]
	v_add_f64 v[28:29], v[28:29], v[30:31]
	;; [unrolled: 2-line block ×3, first 2 shown]
	v_add_f64 v[62:63], v[62:63], v[34:35]
	v_fmac_f64_e32 v[74:75], s[8:9], v[28:29]
	v_fmac_f64_e32 v[2:3], s[8:9], v[28:29]
	ds_write_b128 v89, v[16:19]
	ds_write_b128 v89, v[20:23] offset:3264
	ds_write_b128 v89, v[24:27] offset:6528
	;; [unrolled: 1-line block ×14, first 2 shown]
	s_waitcnt lgkmcnt(0)
	s_barrier
	s_and_saveexec_b64 s[2:3], s[0:1]
	s_cbranch_execz .LBB0_32
; %bb.31:
	v_mul_lo_u32 v0, s11, v86
	v_mul_lo_u32 v1, s10, v87
	v_mad_u64_u32 v[4:5], s[0:1], s10, v86, 0
	v_lshl_add_u32 v12, v88, 4, v176
	v_add3_u32 v5, v5, v1, v0
	ds_read_b128 v[0:3], v12
	v_lshl_add_u64 v[4:5], v[4:5], 4, s[6:7]
	v_lshl_add_u64 v[8:9], v[84:85], 4, v[4:5]
	ds_read_b128 v[4:7], v12 offset:1088
	v_mov_b32_e32 v89, 0
	v_lshl_add_u64 v[10:11], v[88:89], 4, v[8:9]
	s_waitcnt lgkmcnt(1)
	global_store_dwordx4 v[10:11], v[0:3], off
	s_nop 1
	v_add_u32_e32 v0, 0x44, v88
	v_mov_b32_e32 v1, v89
	v_lshl_add_u64 v[0:1], v[0:1], 4, v[8:9]
	s_waitcnt lgkmcnt(0)
	global_store_dwordx4 v[0:1], v[4:7], off
	ds_read_b128 v[0:3], v12 offset:2176
	s_nop 0
	v_add_u32_e32 v4, 0x88, v88
	v_mov_b32_e32 v5, v89
	v_lshl_add_u64 v[10:11], v[4:5], 4, v[8:9]
	ds_read_b128 v[4:7], v12 offset:3264
	s_waitcnt lgkmcnt(1)
	global_store_dwordx4 v[10:11], v[0:3], off
	s_nop 1
	v_add_u32_e32 v0, 0xcc, v88
	v_mov_b32_e32 v1, v89
	v_lshl_add_u64 v[0:1], v[0:1], 4, v[8:9]
	s_waitcnt lgkmcnt(0)
	global_store_dwordx4 v[0:1], v[4:7], off
	ds_read_b128 v[0:3], v12 offset:4352
	s_nop 0
	v_add_u32_e32 v4, 0x110, v88
	v_mov_b32_e32 v5, v89
	v_lshl_add_u64 v[10:11], v[4:5], 4, v[8:9]
	ds_read_b128 v[4:7], v12 offset:5440
	;; [unrolled: 14-line block ×6, first 2 shown]
	s_waitcnt lgkmcnt(1)
	global_store_dwordx4 v[10:11], v[0:3], off
	ds_read_b128 v[0:3], v12 offset:15232
	v_add_u32_e32 v10, 0x374, v88
	v_mov_b32_e32 v11, v89
	v_lshl_add_u64 v[10:11], v[10:11], 4, v[8:9]
	v_add_u32_e32 v88, 0x3b8, v88
	s_waitcnt lgkmcnt(1)
	global_store_dwordx4 v[10:11], v[4:7], off
	s_nop 1
	v_lshl_add_u64 v[4:5], v[88:89], 4, v[8:9]
	s_waitcnt lgkmcnt(0)
	global_store_dwordx4 v[4:5], v[0:3], off
.LBB0_32:
	s_endpgm
	.section	.rodata,"a",@progbits
	.p2align	6, 0x0
	.amdhsa_kernel fft_rtc_back_len1020_factors_2_17_2_3_5_wgs_204_tpt_68_halfLds_dp_op_CI_CI_unitstride_sbrr_C2R_dirReg
		.amdhsa_group_segment_fixed_size 0
		.amdhsa_private_segment_fixed_size 0
		.amdhsa_kernarg_size 104
		.amdhsa_user_sgpr_count 2
		.amdhsa_user_sgpr_dispatch_ptr 0
		.amdhsa_user_sgpr_queue_ptr 0
		.amdhsa_user_sgpr_kernarg_segment_ptr 1
		.amdhsa_user_sgpr_dispatch_id 0
		.amdhsa_user_sgpr_kernarg_preload_length 0
		.amdhsa_user_sgpr_kernarg_preload_offset 0
		.amdhsa_user_sgpr_private_segment_size 0
		.amdhsa_uses_dynamic_stack 0
		.amdhsa_enable_private_segment 0
		.amdhsa_system_sgpr_workgroup_id_x 1
		.amdhsa_system_sgpr_workgroup_id_y 0
		.amdhsa_system_sgpr_workgroup_id_z 0
		.amdhsa_system_sgpr_workgroup_info 0
		.amdhsa_system_vgpr_workitem_id 0
		.amdhsa_next_free_vgpr 292
		.amdhsa_next_free_sgpr 60
		.amdhsa_accum_offset 256
		.amdhsa_reserve_vcc 1
		.amdhsa_float_round_mode_32 0
		.amdhsa_float_round_mode_16_64 0
		.amdhsa_float_denorm_mode_32 3
		.amdhsa_float_denorm_mode_16_64 3
		.amdhsa_dx10_clamp 1
		.amdhsa_ieee_mode 1
		.amdhsa_fp16_overflow 0
		.amdhsa_tg_split 0
		.amdhsa_exception_fp_ieee_invalid_op 0
		.amdhsa_exception_fp_denorm_src 0
		.amdhsa_exception_fp_ieee_div_zero 0
		.amdhsa_exception_fp_ieee_overflow 0
		.amdhsa_exception_fp_ieee_underflow 0
		.amdhsa_exception_fp_ieee_inexact 0
		.amdhsa_exception_int_div_zero 0
	.end_amdhsa_kernel
	.text
.Lfunc_end0:
	.size	fft_rtc_back_len1020_factors_2_17_2_3_5_wgs_204_tpt_68_halfLds_dp_op_CI_CI_unitstride_sbrr_C2R_dirReg, .Lfunc_end0-fft_rtc_back_len1020_factors_2_17_2_3_5_wgs_204_tpt_68_halfLds_dp_op_CI_CI_unitstride_sbrr_C2R_dirReg
                                        ; -- End function
	.section	.AMDGPU.csdata,"",@progbits
; Kernel info:
; codeLenInByte = 16508
; NumSgprs: 66
; NumVgprs: 256
; NumAgprs: 36
; TotalNumVgprs: 292
; ScratchSize: 0
; MemoryBound: 0
; FloatMode: 240
; IeeeMode: 1
; LDSByteSize: 0 bytes/workgroup (compile time only)
; SGPRBlocks: 8
; VGPRBlocks: 36
; NumSGPRsForWavesPerEU: 66
; NumVGPRsForWavesPerEU: 292
; AccumOffset: 256
; Occupancy: 1
; WaveLimiterHint : 1
; COMPUTE_PGM_RSRC2:SCRATCH_EN: 0
; COMPUTE_PGM_RSRC2:USER_SGPR: 2
; COMPUTE_PGM_RSRC2:TRAP_HANDLER: 0
; COMPUTE_PGM_RSRC2:TGID_X_EN: 1
; COMPUTE_PGM_RSRC2:TGID_Y_EN: 0
; COMPUTE_PGM_RSRC2:TGID_Z_EN: 0
; COMPUTE_PGM_RSRC2:TIDIG_COMP_CNT: 0
; COMPUTE_PGM_RSRC3_GFX90A:ACCUM_OFFSET: 63
; COMPUTE_PGM_RSRC3_GFX90A:TG_SPLIT: 0
	.text
	.p2alignl 6, 3212836864
	.fill 256, 4, 3212836864
	.type	__hip_cuid_7270c6127bfeaf56,@object ; @__hip_cuid_7270c6127bfeaf56
	.section	.bss,"aw",@nobits
	.globl	__hip_cuid_7270c6127bfeaf56
__hip_cuid_7270c6127bfeaf56:
	.byte	0                               ; 0x0
	.size	__hip_cuid_7270c6127bfeaf56, 1

	.ident	"AMD clang version 19.0.0git (https://github.com/RadeonOpenCompute/llvm-project roc-6.4.0 25133 c7fe45cf4b819c5991fe208aaa96edf142730f1d)"
	.section	".note.GNU-stack","",@progbits
	.addrsig
	.addrsig_sym __hip_cuid_7270c6127bfeaf56
	.amdgpu_metadata
---
amdhsa.kernels:
  - .agpr_count:     36
    .args:
      - .actual_access:  read_only
        .address_space:  global
        .offset:         0
        .size:           8
        .value_kind:     global_buffer
      - .offset:         8
        .size:           8
        .value_kind:     by_value
      - .actual_access:  read_only
        .address_space:  global
        .offset:         16
        .size:           8
        .value_kind:     global_buffer
      - .actual_access:  read_only
        .address_space:  global
        .offset:         24
        .size:           8
        .value_kind:     global_buffer
      - .actual_access:  read_only
        .address_space:  global
        .offset:         32
        .size:           8
        .value_kind:     global_buffer
      - .offset:         40
        .size:           8
        .value_kind:     by_value
      - .actual_access:  read_only
        .address_space:  global
        .offset:         48
        .size:           8
        .value_kind:     global_buffer
      - .actual_access:  read_only
        .address_space:  global
        .offset:         56
        .size:           8
        .value_kind:     global_buffer
      - .offset:         64
        .size:           4
        .value_kind:     by_value
      - .actual_access:  read_only
        .address_space:  global
        .offset:         72
        .size:           8
        .value_kind:     global_buffer
      - .actual_access:  read_only
        .address_space:  global
        .offset:         80
        .size:           8
        .value_kind:     global_buffer
      - .actual_access:  read_only
        .address_space:  global
        .offset:         88
        .size:           8
        .value_kind:     global_buffer
      - .actual_access:  write_only
        .address_space:  global
        .offset:         96
        .size:           8
        .value_kind:     global_buffer
    .group_segment_fixed_size: 0
    .kernarg_segment_align: 8
    .kernarg_segment_size: 104
    .language:       OpenCL C
    .language_version:
      - 2
      - 0
    .max_flat_workgroup_size: 204
    .name:           fft_rtc_back_len1020_factors_2_17_2_3_5_wgs_204_tpt_68_halfLds_dp_op_CI_CI_unitstride_sbrr_C2R_dirReg
    .private_segment_fixed_size: 0
    .sgpr_count:     66
    .sgpr_spill_count: 0
    .symbol:         fft_rtc_back_len1020_factors_2_17_2_3_5_wgs_204_tpt_68_halfLds_dp_op_CI_CI_unitstride_sbrr_C2R_dirReg.kd
    .uniform_work_group_size: 1
    .uses_dynamic_stack: false
    .vgpr_count:     292
    .vgpr_spill_count: 0
    .wavefront_size: 64
amdhsa.target:   amdgcn-amd-amdhsa--gfx950
amdhsa.version:
  - 1
  - 2
...

	.end_amdgpu_metadata
